;; amdgpu-corpus repo=ROCm/rocFFT kind=compiled arch=gfx906 opt=O3
	.text
	.amdgcn_target "amdgcn-amd-amdhsa--gfx906"
	.amdhsa_code_object_version 6
	.protected	fft_rtc_fwd_len289_factors_17_17_wgs_119_tpt_17_dp_op_CI_CI_sbcc_twdbase8_2step ; -- Begin function fft_rtc_fwd_len289_factors_17_17_wgs_119_tpt_17_dp_op_CI_CI_sbcc_twdbase8_2step
	.globl	fft_rtc_fwd_len289_factors_17_17_wgs_119_tpt_17_dp_op_CI_CI_sbcc_twdbase8_2step
	.p2align	8
	.type	fft_rtc_fwd_len289_factors_17_17_wgs_119_tpt_17_dp_op_CI_CI_sbcc_twdbase8_2step,@function
fft_rtc_fwd_len289_factors_17_17_wgs_119_tpt_17_dp_op_CI_CI_sbcc_twdbase8_2step: ; @fft_rtc_fwd_len289_factors_17_17_wgs_119_tpt_17_dp_op_CI_CI_sbcc_twdbase8_2step
; %bb.0:
	s_load_dwordx4 s[0:3], s[4:5], 0x18
	s_load_dwordx2 s[28:29], s[4:5], 0x28
	s_mov_b32 s7, 0
	s_mov_b64 s[24:25], 0
	s_waitcnt lgkmcnt(0)
	s_load_dwordx2 s[26:27], s[0:1], 0x8
	s_waitcnt lgkmcnt(0)
	s_add_u32 s8, s26, -1
	s_addc_u32 s9, s27, -1
	s_add_u32 s10, 0, 0x92481000
	s_addc_u32 s11, 0, 0x64
	s_mul_hi_u32 s13, s10, -7
	s_add_i32 s11, s11, 0x249248c0
	s_sub_i32 s13, s13, s10
	s_mul_i32 s16, s11, -7
	s_mul_i32 s12, s10, -7
	s_add_i32 s13, s13, s16
	s_mul_hi_u32 s14, s11, s12
	s_mul_i32 s15, s11, s12
	s_mul_i32 s17, s10, s13
	s_mul_hi_u32 s12, s10, s12
	s_mul_hi_u32 s16, s10, s13
	s_add_u32 s12, s12, s17
	s_addc_u32 s16, 0, s16
	s_add_u32 s12, s12, s15
	s_mul_hi_u32 s17, s11, s13
	s_addc_u32 s12, s16, s14
	s_addc_u32 s14, s17, 0
	s_mul_i32 s13, s11, s13
	s_add_u32 s12, s12, s13
	v_mov_b32_e32 v1, s12
	s_addc_u32 s13, 0, s14
	v_add_co_u32_e32 v1, vcc, s10, v1
	s_cmp_lg_u64 vcc, 0
	s_addc_u32 s10, s11, s13
	v_readfirstlane_b32 s13, v1
	s_mul_i32 s12, s8, s10
	s_mul_hi_u32 s14, s8, s13
	s_mul_hi_u32 s11, s8, s10
	s_add_u32 s12, s14, s12
	s_addc_u32 s11, 0, s11
	s_mul_hi_u32 s15, s9, s13
	s_mul_i32 s13, s9, s13
	s_add_u32 s12, s12, s13
	s_mul_hi_u32 s14, s9, s10
	s_addc_u32 s11, s11, s15
	s_addc_u32 s12, s14, 0
	s_mul_i32 s10, s9, s10
	s_add_u32 s10, s11, s10
	s_addc_u32 s11, 0, s12
	s_add_u32 s12, s10, 1
	s_addc_u32 s13, s11, 0
	s_add_u32 s14, s10, 2
	s_mul_i32 s16, s11, 7
	s_mul_hi_u32 s17, s10, 7
	s_addc_u32 s15, s11, 0
	s_add_i32 s17, s17, s16
	s_mul_i32 s16, s10, 7
	v_mov_b32_e32 v1, s16
	v_sub_co_u32_e32 v1, vcc, s8, v1
	s_cmp_lg_u64 vcc, 0
	s_subb_u32 s8, s9, s17
	v_subrev_co_u32_e32 v2, vcc, 7, v1
	s_cmp_lg_u64 vcc, 0
	s_subb_u32 s9, s8, 0
	v_readfirstlane_b32 s16, v2
	s_cmp_gt_u32 s16, 6
	s_cselect_b32 s16, -1, 0
	s_cmp_eq_u32 s9, 0
	s_cselect_b32 s9, s16, -1
	s_cmp_lg_u32 s9, 0
	s_cselect_b32 s9, s14, s12
	s_cselect_b32 s12, s15, s13
	v_readfirstlane_b32 s13, v1
	s_cmp_gt_u32 s13, 6
	s_cselect_b32 s13, -1, 0
	s_cmp_eq_u32 s8, 0
	s_cselect_b32 s8, s13, -1
	s_cmp_lg_u32 s8, 0
	s_cselect_b32 s9, s9, s10
	s_cselect_b32 s8, s12, s11
	s_add_u32 s34, s9, 1
	s_addc_u32 s35, s8, 0
	v_mov_b32_e32 v1, s34
	v_mov_b32_e32 v2, s35
	v_cmp_lt_u64_e32 vcc, s[6:7], v[1:2]
	s_cbranch_vccnz .LBB0_2
; %bb.1:
	v_cvt_f32_u32_e32 v1, s34
	s_sub_i32 s8, 0, s34
	s_mov_b32 s25, s7
	v_rcp_iflag_f32_e32 v1, v1
	v_mul_f32_e32 v1, 0x4f7ffffe, v1
	v_cvt_u32_f32_e32 v1, v1
	v_readfirstlane_b32 s9, v1
	s_mul_i32 s8, s8, s9
	s_mul_hi_u32 s8, s9, s8
	s_add_i32 s9, s9, s8
	s_mul_hi_u32 s8, s6, s9
	s_mul_i32 s10, s8, s34
	s_sub_i32 s10, s6, s10
	s_add_i32 s9, s8, 1
	s_sub_i32 s11, s10, s34
	s_cmp_ge_u32 s10, s34
	s_cselect_b32 s8, s9, s8
	s_cselect_b32 s10, s11, s10
	s_add_i32 s9, s8, 1
	s_cmp_ge_u32 s10, s34
	s_cselect_b32 s24, s9, s8
.LBB0_2:
	s_load_dwordx4 s[12:15], s[4:5], 0x60
	s_load_dwordx4 s[20:23], s[2:3], 0x0
	;; [unrolled: 1-line block ×3, first 2 shown]
	s_load_dwordx2 s[46:47], s[4:5], 0x0
	s_load_dwordx4 s[16:19], s[4:5], 0x8
	s_mul_i32 s4, s24, s35
	s_mul_hi_u32 s5, s24, s34
	s_add_i32 s5, s5, s4
	s_mul_i32 s4, s24, s34
	s_sub_u32 s52, s6, s4
	s_subb_u32 s4, 0, s5
	s_mul_i32 s4, s4, 7
	s_mul_hi_u32 s33, s52, 7
	s_add_i32 s33, s33, s4
	s_mul_i32 s52, s52, 7
	s_waitcnt lgkmcnt(0)
	s_mul_i32 s4, s22, s33
	s_mul_hi_u32 s5, s22, s52
	s_add_i32 s4, s5, s4
	s_mul_i32 s5, s23, s52
	s_add_i32 s31, s4, s5
	s_mul_i32 s4, s10, s33
	s_mul_hi_u32 s5, s10, s52
	v_cmp_lt_u64_e64 s[36:37], s[18:19], 3
	s_add_i32 s4, s5, s4
	s_mul_i32 s5, s11, s52
	s_mul_i32 s30, s22, s52
	s_add_i32 s5, s4, s5
	s_mul_i32 s4, s10, s52
	s_and_b64 vcc, exec, s[36:37]
	s_cbranch_vccnz .LBB0_12
; %bb.3:
	s_add_u32 s36, s28, 16
	s_addc_u32 s37, s29, 0
	s_add_u32 s38, s2, 16
	s_addc_u32 s39, s3, 0
	s_add_u32 s40, s0, 16
	v_mov_b32_e32 v1, s18
	s_addc_u32 s41, s1, 0
	s_mov_b64 s[42:43], 2
	s_mov_b32 s44, 0
	v_mov_b32_e32 v2, s19
.LBB0_4:                                ; =>This Inner Loop Header: Depth=1
	s_load_dwordx2 s[48:49], s[40:41], 0x0
	s_waitcnt lgkmcnt(0)
	s_or_b64 s[0:1], s[24:25], s[48:49]
	s_mov_b32 s45, s1
	s_cmp_lg_u64 s[44:45], 0
	s_cbranch_scc0 .LBB0_9
; %bb.5:                                ;   in Loop: Header=BB0_4 Depth=1
	v_cvt_f32_u32_e32 v3, s48
	v_cvt_f32_u32_e32 v4, s49
	s_sub_u32 s0, 0, s48
	s_subb_u32 s1, 0, s49
	v_mac_f32_e32 v3, 0x4f800000, v4
	v_rcp_f32_e32 v3, v3
	v_mul_f32_e32 v3, 0x5f7ffffc, v3
	v_mul_f32_e32 v4, 0x2f800000, v3
	v_trunc_f32_e32 v4, v4
	v_mac_f32_e32 v3, 0xcf800000, v4
	v_cvt_u32_f32_e32 v4, v4
	v_cvt_u32_f32_e32 v3, v3
	v_readfirstlane_b32 s45, v4
	v_readfirstlane_b32 s50, v3
	s_mul_i32 s51, s0, s45
	s_mul_hi_u32 s54, s0, s50
	s_mul_i32 s53, s1, s50
	s_add_i32 s51, s54, s51
	s_mul_i32 s55, s0, s50
	s_add_i32 s51, s51, s53
	s_mul_hi_u32 s53, s50, s51
	s_mul_i32 s54, s50, s51
	s_mul_hi_u32 s50, s50, s55
	s_add_u32 s50, s50, s54
	s_addc_u32 s53, 0, s53
	s_mul_hi_u32 s56, s45, s55
	s_mul_i32 s55, s45, s55
	s_add_u32 s50, s50, s55
	s_mul_hi_u32 s54, s45, s51
	s_addc_u32 s50, s53, s56
	s_addc_u32 s53, s54, 0
	s_mul_i32 s51, s45, s51
	s_add_u32 s50, s50, s51
	s_addc_u32 s51, 0, s53
	v_add_co_u32_e32 v3, vcc, s50, v3
	s_cmp_lg_u64 vcc, 0
	s_addc_u32 s45, s45, s51
	v_readfirstlane_b32 s51, v3
	s_mul_i32 s50, s0, s45
	s_mul_hi_u32 s53, s0, s51
	s_add_i32 s50, s53, s50
	s_mul_i32 s1, s1, s51
	s_add_i32 s50, s50, s1
	s_mul_i32 s0, s0, s51
	s_mul_hi_u32 s53, s45, s0
	s_mul_i32 s54, s45, s0
	s_mul_i32 s56, s51, s50
	s_mul_hi_u32 s0, s51, s0
	s_mul_hi_u32 s55, s51, s50
	s_add_u32 s0, s0, s56
	s_addc_u32 s51, 0, s55
	s_add_u32 s0, s0, s54
	s_mul_hi_u32 s1, s45, s50
	s_addc_u32 s0, s51, s53
	s_addc_u32 s1, s1, 0
	s_mul_i32 s50, s45, s50
	s_add_u32 s0, s0, s50
	s_addc_u32 s1, 0, s1
	v_add_co_u32_e32 v3, vcc, s0, v3
	s_cmp_lg_u64 vcc, 0
	s_addc_u32 s0, s45, s1
	v_readfirstlane_b32 s50, v3
	s_mul_i32 s45, s24, s0
	s_mul_hi_u32 s51, s24, s50
	s_mul_hi_u32 s1, s24, s0
	s_add_u32 s45, s51, s45
	s_addc_u32 s1, 0, s1
	s_mul_hi_u32 s53, s25, s50
	s_mul_i32 s50, s25, s50
	s_add_u32 s45, s45, s50
	s_mul_hi_u32 s51, s25, s0
	s_addc_u32 s1, s1, s53
	s_addc_u32 s45, s51, 0
	s_mul_i32 s0, s25, s0
	s_add_u32 s50, s1, s0
	s_addc_u32 s45, 0, s45
	s_mul_i32 s0, s48, s45
	s_mul_hi_u32 s1, s48, s50
	s_add_i32 s0, s1, s0
	s_mul_i32 s1, s49, s50
	s_add_i32 s51, s0, s1
	s_mul_i32 s1, s48, s50
	v_mov_b32_e32 v3, s1
	s_sub_i32 s0, s25, s51
	v_sub_co_u32_e32 v3, vcc, s24, v3
	s_cmp_lg_u64 vcc, 0
	s_subb_u32 s53, s0, s49
	v_subrev_co_u32_e64 v4, s[0:1], s48, v3
	s_cmp_lg_u64 s[0:1], 0
	s_subb_u32 s0, s53, 0
	s_cmp_ge_u32 s0, s49
	v_readfirstlane_b32 s53, v4
	s_cselect_b32 s1, -1, 0
	s_cmp_ge_u32 s53, s48
	s_cselect_b32 s53, -1, 0
	s_cmp_eq_u32 s0, s49
	s_cselect_b32 s0, s53, s1
	s_add_u32 s1, s50, 1
	s_addc_u32 s53, s45, 0
	s_add_u32 s54, s50, 2
	s_addc_u32 s55, s45, 0
	s_cmp_lg_u32 s0, 0
	s_cselect_b32 s0, s54, s1
	s_cselect_b32 s1, s55, s53
	s_cmp_lg_u64 vcc, 0
	s_subb_u32 s51, s25, s51
	s_cmp_ge_u32 s51, s49
	v_readfirstlane_b32 s54, v3
	s_cselect_b32 s53, -1, 0
	s_cmp_ge_u32 s54, s48
	s_cselect_b32 s54, -1, 0
	s_cmp_eq_u32 s51, s49
	s_cselect_b32 s51, s54, s53
	s_cmp_lg_u32 s51, 0
	s_cselect_b32 s1, s1, s45
	s_cselect_b32 s0, s0, s50
	s_cbranch_execnz .LBB0_7
.LBB0_6:                                ;   in Loop: Header=BB0_4 Depth=1
	v_cvt_f32_u32_e32 v3, s48
	s_sub_i32 s0, 0, s48
	v_rcp_iflag_f32_e32 v3, v3
	v_mul_f32_e32 v3, 0x4f7ffffe, v3
	v_cvt_u32_f32_e32 v3, v3
	v_readfirstlane_b32 s1, v3
	s_mul_i32 s0, s0, s1
	s_mul_hi_u32 s0, s1, s0
	s_add_i32 s1, s1, s0
	s_mul_hi_u32 s0, s24, s1
	s_mul_i32 s45, s0, s48
	s_sub_i32 s45, s24, s45
	s_add_i32 s1, s0, 1
	s_sub_i32 s50, s45, s48
	s_cmp_ge_u32 s45, s48
	s_cselect_b32 s0, s1, s0
	s_cselect_b32 s45, s50, s45
	s_add_i32 s1, s0, 1
	s_cmp_ge_u32 s45, s48
	s_cselect_b32 s0, s1, s0
	s_mov_b32 s1, s44
.LBB0_7:                                ;   in Loop: Header=BB0_4 Depth=1
	s_mul_i32 s35, s48, s35
	s_mul_hi_u32 s45, s48, s34
	s_add_i32 s35, s45, s35
	s_mul_i32 s45, s49, s34
	s_add_i32 s35, s35, s45
	s_mul_i32 s45, s0, s49
	s_mul_hi_u32 s49, s0, s48
	s_load_dwordx2 s[50:51], s[38:39], 0x0
	s_add_i32 s45, s49, s45
	s_mul_i32 s49, s1, s48
	s_mul_i32 s34, s48, s34
	s_add_i32 s45, s45, s49
	s_mul_i32 s48, s0, s48
	s_sub_u32 s48, s24, s48
	s_subb_u32 s45, s25, s45
	s_waitcnt lgkmcnt(0)
	s_mul_i32 s24, s50, s45
	s_mul_hi_u32 s25, s50, s48
	s_add_i32 s49, s25, s24
	s_load_dwordx2 s[24:25], s[36:37], 0x0
	s_mul_i32 s51, s51, s48
	s_add_i32 s49, s49, s51
	s_mul_i32 s50, s50, s48
	s_add_u32 s30, s50, s30
	s_addc_u32 s31, s49, s31
	s_waitcnt lgkmcnt(0)
	s_mul_i32 s45, s24, s45
	s_mul_hi_u32 s49, s24, s48
	s_add_i32 s45, s49, s45
	s_mul_i32 s25, s25, s48
	s_add_i32 s45, s45, s25
	s_mul_i32 s24, s24, s48
	s_add_u32 s4, s24, s4
	s_addc_u32 s5, s45, s5
	s_add_u32 s42, s42, 1
	s_addc_u32 s43, s43, 0
	;; [unrolled: 2-line block ×4, first 2 shown]
	v_cmp_ge_u64_e32 vcc, s[42:43], v[1:2]
	s_add_u32 s40, s40, 8
	s_addc_u32 s41, s41, 0
	s_cbranch_vccnz .LBB0_10
; %bb.8:                                ;   in Loop: Header=BB0_4 Depth=1
	s_mov_b64 s[24:25], s[0:1]
	s_branch .LBB0_4
.LBB0_9:                                ;   in Loop: Header=BB0_4 Depth=1
                                        ; implicit-def: $sgpr0_sgpr1
	s_branch .LBB0_6
.LBB0_10:
	v_mov_b32_e32 v1, s34
	v_mov_b32_e32 v2, s35
	v_cmp_lt_u64_e32 vcc, s[6:7], v[1:2]
	s_mov_b64 s[24:25], 0
	s_cbranch_vccnz .LBB0_12
; %bb.11:
	v_cvt_f32_u32_e32 v1, s34
	s_sub_i32 s0, 0, s34
	v_rcp_iflag_f32_e32 v1, v1
	v_mul_f32_e32 v1, 0x4f7ffffe, v1
	v_cvt_u32_f32_e32 v1, v1
	v_readfirstlane_b32 s1, v1
	s_mul_i32 s0, s0, s1
	s_mul_hi_u32 s0, s1, s0
	s_add_i32 s1, s1, s0
	s_mul_hi_u32 s0, s6, s1
	s_mul_i32 s7, s0, s34
	s_sub_i32 s6, s6, s7
	s_add_i32 s1, s0, 1
	s_sub_i32 s7, s6, s34
	s_cmp_ge_u32 s6, s34
	s_cselect_b32 s0, s1, s0
	s_cselect_b32 s6, s7, s6
	s_add_i32 s1, s0, 1
	s_cmp_ge_u32 s6, s34
	s_cselect_b32 s24, s1, s0
.LBB0_12:
	s_lshl_b64 s[34:35], s[18:19], 3
	s_add_u32 s6, s28, s34
	s_addc_u32 s7, s29, s35
	s_add_u32 s0, s52, 7
	v_mov_b32_e32 v1, s26
	s_addc_u32 s1, s33, 0
	v_mov_b32_e32 v2, s27
	v_cmp_le_u64_e32 vcc, s[0:1], v[1:2]
	v_mul_u32_u24_e32 v1, 0x2493, v0
	v_lshrrev_b32_e32 v120, 16, v1
	v_mul_lo_u16_e32 v1, 7, v120
	v_sub_u16_e32 v124, v0, v1
	v_mov_b32_e32 v2, s33
	v_add_co_u32_e64 v1, s[0:1], s52, v124
	v_addc_co_u32_e64 v2, s[0:1], 0, v2, s[0:1]
	v_cmp_gt_u64_e64 s[0:1], s[26:27], v[1:2]
	v_lshlrev_b32_e32 v125, 4, v120
	s_or_b64 s[0:1], vcc, s[0:1]
	v_add_u32_e32 v123, 17, v120
	v_add_u32_e32 v122, 34, v120
	;; [unrolled: 1-line block ×3, first 2 shown]
	s_and_saveexec_b64 s[18:19], s[0:1]
	s_cbranch_execz .LBB0_14
; %bb.13:
	s_add_u32 s2, s2, s34
	s_addc_u32 s3, s3, s35
	s_load_dwordx2 s[2:3], s[2:3], 0x0
	v_mad_u64_u32 v[1:2], s[26:27], s22, v124, 0
	v_mad_u64_u32 v[3:4], s[26:27], s20, v120, 0
	s_waitcnt lgkmcnt(0)
	s_mul_i32 s3, s3, s24
	s_mul_hi_u32 s25, s2, s24
	s_add_i32 s3, s25, s3
	s_mul_i32 s2, s2, s24
	v_mad_u64_u32 v[5:6], s[22:23], s23, v124, v[2:3]
	v_mov_b32_e32 v2, v4
	s_lshl_b64 s[2:3], s[2:3], 4
	v_mad_u64_u32 v[6:7], s[22:23], s21, v120, v[2:3]
	s_add_u32 s12, s12, s2
	s_addc_u32 s13, s13, s3
	s_lshl_b64 s[2:3], s[30:31], 4
	s_add_u32 s12, s12, s2
	s_addc_u32 s2, s13, s3
	v_mov_b32_e32 v2, v5
	v_mov_b32_e32 v4, v6
	;; [unrolled: 1-line block ×3, first 2 shown]
	v_mad_u64_u32 v[5:6], s[2:3], s20, v123, 0
	v_lshlrev_b64 v[1:2], 4, v[1:2]
	v_mad_u64_u32 v[11:12], s[2:3], s20, v122, 0
	v_add_co_u32_e32 v71, vcc, s12, v1
	v_addc_co_u32_e32 v72, vcc, v7, v2, vcc
	v_lshlrev_b64 v[1:2], 4, v[3:4]
	v_mov_b32_e32 v3, v6
	v_mad_u64_u32 v[3:4], s[2:3], s21, v123, v[3:4]
	v_add_co_u32_e32 v9, vcc, v71, v1
	v_mov_b32_e32 v6, v3
	v_addc_co_u32_e32 v10, vcc, v72, v2, vcc
	v_lshlrev_b64 v[1:2], 4, v[5:6]
	v_add_u32_e32 v35, 0x77, v120
	v_add_co_u32_e32 v13, vcc, v71, v1
	v_mov_b32_e32 v1, v12
	v_mad_u64_u32 v[15:16], s[2:3], s21, v122, v[1:2]
	v_mad_u64_u32 v[16:17], s[2:3], s20, v121, 0
	v_mov_b32_e32 v12, v15
	v_addc_co_u32_e32 v14, vcc, v72, v2, vcc
	global_load_dwordx4 v[1:4], v[9:10], off
	global_load_dwordx4 v[5:8], v[13:14], off
	v_lshlrev_b64 v[9:10], 4, v[11:12]
	v_mov_b32_e32 v11, v17
	v_mad_u64_u32 v[11:12], s[2:3], s21, v121, v[11:12]
	v_add_co_u32_e32 v18, vcc, v71, v9
	v_mov_b32_e32 v17, v11
	v_addc_co_u32_e32 v19, vcc, v72, v10, vcc
	v_lshlrev_b64 v[9:10], 4, v[16:17]
	v_add_u32_e32 v11, 0x55, v120
	v_add_co_u32_e32 v20, vcc, v71, v9
	v_addc_co_u32_e32 v21, vcc, v72, v10, vcc
	v_add_u32_e32 v10, 0x44, v120
	v_mad_u64_u32 v[22:23], s[2:3], s20, v10, 0
	v_mad_u64_u32 v[24:25], s[2:3], s20, v11, 0
	v_mov_b32_e32 v9, v23
	v_mad_u64_u32 v[26:27], s[2:3], s21, v10, v[9:10]
	v_mov_b32_e32 v9, v25
	;; [unrolled: 2-line block ×3, first 2 shown]
	global_load_dwordx4 v[9:12], v[18:19], off
	global_load_dwordx4 v[13:16], v[20:21], off
	v_lshlrev_b64 v[17:18], 4, v[22:23]
	v_add_u32_e32 v19, 0x66, v120
	v_mad_u64_u32 v[28:29], s[2:3], s20, v19, 0
	v_mov_b32_e32 v25, v27
	v_add_co_u32_e32 v26, vcc, v71, v17
	v_addc_co_u32_e32 v27, vcc, v72, v18, vcc
	v_lshlrev_b64 v[17:18], 4, v[24:25]
	v_add_u32_e32 v42, 0x99, v120
	v_add_co_u32_e32 v30, vcc, v71, v17
	v_mov_b32_e32 v17, v29
	v_mad_u64_u32 v[32:33], s[2:3], s21, v19, v[17:18]
	v_mad_u64_u32 v[33:34], s[2:3], s20, v35, 0
	v_addc_co_u32_e32 v31, vcc, v72, v18, vcc
	global_load_dwordx4 v[17:20], v[26:27], off
	global_load_dwordx4 v[21:24], v[30:31], off
	v_mov_b32_e32 v29, v32
	v_mov_b32_e32 v27, v34
	v_lshlrev_b64 v[25:26], 4, v[28:29]
	v_mad_u64_u32 v[27:28], s[2:3], s21, v35, v[27:28]
	v_add_co_u32_e32 v35, vcc, v71, v25
	v_mov_b32_e32 v34, v27
	v_add_u32_e32 v27, 0x88, v120
	v_addc_co_u32_e32 v36, vcc, v72, v26, vcc
	v_lshlrev_b64 v[25:26], 4, v[33:34]
	v_mad_u64_u32 v[33:34], s[2:3], s20, v27, 0
	v_add_co_u32_e32 v37, vcc, v71, v25
	v_mov_b32_e32 v25, v34
	v_mad_u64_u32 v[39:40], s[2:3], s21, v27, v[25:26]
	v_mad_u64_u32 v[40:41], s[2:3], s20, v42, 0
	v_addc_co_u32_e32 v38, vcc, v72, v26, vcc
	global_load_dwordx4 v[25:28], v[35:36], off
	global_load_dwordx4 v[29:32], v[37:38], off
	v_mov_b32_e32 v35, v41
	v_mad_u64_u32 v[35:36], s[2:3], s21, v42, v[35:36]
	v_mov_b32_e32 v34, v39
	v_lshlrev_b64 v[33:34], 4, v[33:34]
	v_mov_b32_e32 v41, v35
	v_add_u32_e32 v35, 0xaa, v120
	v_mad_u64_u32 v[44:45], s[2:3], s20, v35, 0
	v_add_co_u32_e32 v42, vcc, v71, v33
	v_addc_co_u32_e32 v43, vcc, v72, v34, vcc
	v_lshlrev_b64 v[33:34], 4, v[40:41]
	v_add_u32_e32 v51, 0xbb, v120
	v_add_co_u32_e32 v46, vcc, v71, v33
	v_mov_b32_e32 v33, v45
	v_mad_u64_u32 v[48:49], s[2:3], s21, v35, v[33:34]
	v_mad_u64_u32 v[49:50], s[2:3], s20, v51, 0
	v_addc_co_u32_e32 v47, vcc, v72, v34, vcc
	global_load_dwordx4 v[33:36], v[42:43], off
	global_load_dwordx4 v[37:40], v[46:47], off
	v_mov_b32_e32 v45, v48
	v_mov_b32_e32 v43, v50
	v_lshlrev_b64 v[41:42], 4, v[44:45]
	v_mad_u64_u32 v[43:44], s[2:3], s21, v51, v[43:44]
	v_add_co_u32_e32 v51, vcc, v71, v41
	v_mov_b32_e32 v50, v43
	v_add_u32_e32 v43, 0xcc, v120
	v_addc_co_u32_e32 v52, vcc, v72, v42, vcc
	v_lshlrev_b64 v[41:42], 4, v[49:50]
	v_mad_u64_u32 v[49:50], s[2:3], s20, v43, 0
	v_add_co_u32_e32 v53, vcc, v71, v41
	v_mov_b32_e32 v41, v50
	v_mad_u64_u32 v[55:56], s[2:3], s21, v43, v[41:42]
	v_add_u32_e32 v58, 0xdd, v120
	v_mad_u64_u32 v[56:57], s[2:3], s20, v58, 0
	v_addc_co_u32_e32 v54, vcc, v72, v42, vcc
	global_load_dwordx4 v[41:44], v[51:52], off
	global_load_dwordx4 v[45:48], v[53:54], off
	v_mov_b32_e32 v51, v57
	v_mad_u64_u32 v[51:52], s[2:3], s21, v58, v[51:52]
	v_mov_b32_e32 v50, v55
	v_lshlrev_b64 v[49:50], 4, v[49:50]
	v_mov_b32_e32 v57, v51
	v_add_u32_e32 v51, 0xee, v120
	v_mad_u64_u32 v[60:61], s[2:3], s20, v51, 0
	v_add_co_u32_e32 v58, vcc, v71, v49
	v_addc_co_u32_e32 v59, vcc, v72, v50, vcc
	v_lshlrev_b64 v[49:50], 4, v[56:57]
	v_add_u32_e32 v67, 0xff, v120
	v_add_co_u32_e32 v62, vcc, v71, v49
	v_mov_b32_e32 v49, v61
	v_mad_u64_u32 v[64:65], s[2:3], s21, v51, v[49:50]
	v_mad_u64_u32 v[65:66], s[2:3], s20, v67, 0
	v_addc_co_u32_e32 v63, vcc, v72, v50, vcc
	global_load_dwordx4 v[49:52], v[58:59], off
	global_load_dwordx4 v[53:56], v[62:63], off
	v_mov_b32_e32 v61, v64
	v_mov_b32_e32 v59, v66
	v_lshlrev_b64 v[57:58], 4, v[60:61]
	v_mad_u64_u32 v[59:60], s[2:3], s21, v67, v[59:60]
	v_add_u32_e32 v60, 0x110, v120
	v_mad_u64_u32 v[67:68], s[2:3], s20, v60, 0
	v_mov_b32_e32 v66, v59
	v_add_co_u32_e32 v69, vcc, v71, v57
	v_mov_b32_e32 v59, v68
	v_mad_u64_u32 v[59:60], s[2:3], s21, v60, v[59:60]
	v_addc_co_u32_e32 v70, vcc, v72, v58, vcc
	v_lshlrev_b64 v[57:58], 4, v[65:66]
	v_mov_b32_e32 v68, v59
	v_add_co_u32_e32 v65, vcc, v71, v57
	v_addc_co_u32_e32 v66, vcc, v72, v58, vcc
	global_load_dwordx4 v[57:60], v[69:70], off
	global_load_dwordx4 v[61:64], v[65:66], off
	v_lshlrev_b64 v[65:66], 4, v[67:68]
	v_mul_u32_u24_e32 v69, 0x1210, v124
	v_add_co_u32_e32 v65, vcc, v71, v65
	v_addc_co_u32_e32 v66, vcc, v72, v66, vcc
	global_load_dwordx4 v[65:68], v[65:66], off
	v_add3_u32 v69, 0, v69, v125
	s_waitcnt vmcnt(16)
	ds_write_b128 v69, v[1:4]
	s_waitcnt vmcnt(15)
	ds_write_b128 v69, v[5:8] offset:272
	s_waitcnt vmcnt(14)
	ds_write_b128 v69, v[9:12] offset:544
	s_waitcnt vmcnt(13)
	ds_write_b128 v69, v[13:16] offset:816
	s_waitcnt vmcnt(12)
	ds_write_b128 v69, v[17:20] offset:1088
	s_waitcnt vmcnt(11)
	ds_write_b128 v69, v[21:24] offset:1360
	s_waitcnt vmcnt(10)
	ds_write_b128 v69, v[25:28] offset:1632
	s_waitcnt vmcnt(9)
	ds_write_b128 v69, v[29:32] offset:1904
	s_waitcnt vmcnt(8)
	ds_write_b128 v69, v[33:36] offset:2176
	s_waitcnt vmcnt(7)
	ds_write_b128 v69, v[37:40] offset:2448
	s_waitcnt vmcnt(6)
	ds_write_b128 v69, v[41:44] offset:2720
	s_waitcnt vmcnt(5)
	ds_write_b128 v69, v[45:48] offset:2992
	s_waitcnt vmcnt(4)
	ds_write_b128 v69, v[49:52] offset:3264
	s_waitcnt vmcnt(3)
	ds_write_b128 v69, v[53:56] offset:3536
	s_waitcnt vmcnt(2)
	ds_write_b128 v69, v[57:60] offset:3808
	s_waitcnt vmcnt(1)
	ds_write_b128 v69, v[61:64] offset:4080
	s_waitcnt vmcnt(0)
	ds_write_b128 v69, v[65:68] offset:4352
.LBB0_14:
	s_or_b64 exec, exec, s[18:19]
	s_movk_i32 s2, 0xf10
	v_mul_u32_u24_sdwa v1, v0, s2 dst_sel:DWORD dst_unused:UNUSED_PAD src0_sel:WORD_0 src1_sel:DWORD
	s_add_u32 s2, 0, 0x92481000
	s_addc_u32 s3, 0, 0x64
	s_add_i32 s3, s3, 0x249248c0
	s_mul_hi_u32 s19, s2, -7
	s_sub_i32 s19, s19, s2
	s_mul_i32 s20, s3, -7
	s_mul_i32 s12, s2, -7
	s_add_i32 s19, s19, s20
	s_mul_hi_u32 s13, s3, s12
	s_mul_i32 s18, s3, s12
	s_mul_i32 s21, s2, s19
	s_mul_hi_u32 s12, s2, s12
	s_mul_hi_u32 s20, s2, s19
	s_add_u32 s12, s12, s21
	s_addc_u32 s20, 0, s20
	s_add_u32 s12, s12, s18
	s_mul_hi_u32 s21, s3, s19
	s_addc_u32 s12, s20, s13
	v_lshrrev_b32_e32 v5, 16, v1
	s_addc_u32 s13, s21, 0
	s_mul_i32 s18, s3, s19
	v_mov_b32_e32 v1, s33
	v_add_co_u32_e32 v127, vcc, s52, v5
	s_add_u32 s12, s12, s18
	v_addc_co_u32_e32 v6, vcc, 0, v1, vcc
	v_mov_b32_e32 v1, s12
	s_addc_u32 s13, 0, s13
	v_add_co_u32_e32 v3, vcc, s2, v1
	s_cmp_lg_u64 vcc, 0
	s_addc_u32 s12, s3, s13
	v_mad_u64_u32 v[1:2], s[2:3], v127, s12, 0
	v_mul_hi_u32 v4, v127, v3
	s_mov_b32 s48, 0x5d8e7cdc
	s_mov_b32 s36, 0x4363dd80
	;; [unrolled: 1-line block ×3, first 2 shown]
	v_add_co_u32_e32 v7, vcc, v4, v1
	v_addc_co_u32_e32 v8, vcc, 0, v2, vcc
	v_mad_u64_u32 v[1:2], s[2:3], v6, v3, 0
	v_mad_u64_u32 v[3:4], s[2:3], v6, s12, 0
	v_add_co_u32_e32 v1, vcc, v7, v1
	v_addc_co_u32_e32 v1, vcc, v8, v2, vcc
	v_addc_co_u32_e32 v2, vcc, 0, v4, vcc
	v_add_co_u32_e32 v1, vcc, v1, v3
	v_addc_co_u32_e32 v3, vcc, 0, v2, vcc
	v_mad_u64_u32 v[1:2], s[2:3], v1, 7, 0
	s_load_dwordx2 s[2:3], s[6:7], 0x0
	s_waitcnt lgkmcnt(0)
	v_mad_u64_u32 v[2:3], s[6:7], v3, 7, v[2:3]
	v_sub_co_u32_e32 v1, vcc, v127, v1
	v_subb_co_u32_e32 v2, vcc, v6, v2, vcc
	v_subrev_co_u32_e32 v3, vcc, 7, v1
	v_subbrev_co_u32_e32 v4, vcc, 0, v2, vcc
	v_cmp_lt_u32_e32 vcc, 6, v3
	v_cndmask_b32_e64 v6, 0, -1, vcc
	v_cmp_eq_u32_e32 vcc, 0, v4
	v_cndmask_b32_e32 v4, -1, v6, vcc
	v_add_u32_e32 v6, -7, v3
	v_cmp_ne_u32_e32 vcc, 0, v4
	v_cndmask_b32_e32 v3, v3, v6, vcc
	v_cmp_lt_u32_e32 vcc, 6, v1
	v_cndmask_b32_e64 v4, 0, -1, vcc
	v_cmp_eq_u32_e32 vcc, 0, v2
	v_cndmask_b32_e32 v2, -1, v4, vcc
	v_cmp_ne_u32_e32 vcc, 0, v2
	v_cndmask_b32_e32 v1, v1, v3, vcc
	v_mul_u32_u24_e32 v1, 0x121, v1
	v_mul_lo_u16_e32 v2, 17, v5
	v_sub_u16_e32 v128, v0, v2
	v_lshlrev_b32_e32 v0, 4, v1
	v_add_u32_e32 v109, 0, v0
	v_lshlrev_b32_e32 v1, 4, v128
	v_add_u32_e32 v108, v109, v1
	s_barrier
	v_add3_u32 v126, 0, v1, v0
	ds_read_b128 v[48:51], v108
	ds_read_b128 v[0:3], v126 offset:272
	ds_read_b128 v[52:55], v126 offset:544
	;; [unrolled: 1-line block ×7, first 2 shown]
	s_mov_b32 s37, 0xbfe0d888
	s_waitcnt lgkmcnt(6)
	v_add_f64 v[4:5], v[48:49], v[0:1]
	v_add_f64 v[6:7], v[50:51], v[2:3]
	s_mov_b32 s22, 0x370991
	s_mov_b32 s50, 0x2a9d6da3
	s_mov_b32 s58, 0x7c9e640b
	s_mov_b32 s54, 0xeb564b22
	s_mov_b32 s26, 0x923c349f
	s_mov_b32 s30, 0x6c9a05f6
	s_waitcnt lgkmcnt(5)
	v_add_f64 v[4:5], v[4:5], v[52:53]
	v_add_f64 v[6:7], v[6:7], v[54:55]
	s_mov_b32 s34, 0x910ea3b9
	s_mov_b32 s52, 0xacd6c6b4
	s_mov_b32 s23, 0x3fedd6d0
	s_mov_b32 s51, 0xbfe58eea
	s_mov_b32 s59, 0xbfeca52d
	;; [unrolled: 9-line block ×6, first 2 shown]
	s_mov_b32 s42, s48
	s_waitcnt lgkmcnt(0)
	v_add_f64 v[16:17], v[4:5], v[12:13]
	v_add_f64 v[18:19], v[6:7], v[14:15]
	ds_read_b128 v[4:7], v126 offset:2176
	ds_read_b128 v[8:11], v126 offset:2448
	s_mov_b32 s67, 0x3fc7851a
	s_mov_b32 s66, s52
	;; [unrolled: 1-line block ×5, first 2 shown]
	s_waitcnt lgkmcnt(1)
	v_add_f64 v[16:17], v[16:17], v[4:5]
	v_add_f64 v[18:19], v[18:19], v[6:7]
	s_mov_b32 s64, s30
	s_mov_b32 s45, 0x3fefdd0d
	;; [unrolled: 1-line block ×3, first 2 shown]
	s_movk_i32 s25, 0x110
	s_waitcnt lgkmcnt(0)
	v_add_f64 v[32:33], v[16:17], v[8:9]
	v_add_f64 v[34:35], v[18:19], v[10:11]
	ds_read_b128 v[16:19], v126 offset:2720
	ds_read_b128 v[24:27], v126 offset:2992
	s_waitcnt lgkmcnt(1)
	v_add_f64 v[32:33], v[32:33], v[16:17]
	v_add_f64 v[34:35], v[34:35], v[18:19]
	s_waitcnt lgkmcnt(0)
	v_add_f64 v[60:61], v[32:33], v[24:25]
	v_add_f64 v[62:63], v[34:35], v[26:27]
	ds_read_b128 v[32:35], v126 offset:3264
	ds_read_b128 v[40:43], v126 offset:3536
	;; [unrolled: 1-line block ×3, first 2 shown]
	s_waitcnt lgkmcnt(1)
	v_add_f64 v[155:156], v[38:39], -v[42:43]
	v_add_f64 v[60:61], v[60:61], v[32:33]
	v_add_f64 v[62:63], v[62:63], v[34:35]
	s_waitcnt lgkmcnt(0)
	v_add_f64 v[68:69], v[2:3], -v[58:59]
	v_add_f64 v[70:71], v[0:1], -v[56:57]
	v_add_f64 v[76:77], v[0:1], v[56:57]
	v_add_f64 v[78:79], v[2:3], v[58:59]
	v_add_f64 v[157:158], v[36:37], -v[40:41]
	v_add_f64 v[72:73], v[60:61], v[40:41]
	v_add_f64 v[74:75], v[62:63], v[42:43]
	ds_read_b128 v[60:63], v126 offset:3808
	ds_read_b128 v[64:67], v126 offset:4080
	v_mul_f64 v[0:1], v[68:69], s[48:49]
	v_mul_f64 v[2:3], v[70:71], s[48:49]
	;; [unrolled: 1-line block ×4, first 2 shown]
	s_waitcnt lgkmcnt(0)
	v_add_f64 v[139:140], v[54:55], -v[66:67]
	v_add_f64 v[72:73], v[72:73], v[60:61]
	v_add_f64 v[74:75], v[74:75], v[62:63]
	v_add_f64 v[141:142], v[52:53], -v[64:65]
	v_mul_f64 v[80:81], v[68:69], s[50:51]
	v_fma_f64 v[82:83], v[76:77], s[22:23], -v[0:1]
	v_fma_f64 v[84:85], v[78:79], s[22:23], v[2:3]
	v_mul_f64 v[86:87], v[70:71], s[50:51]
	v_mul_f64 v[88:89], v[68:69], s[58:59]
	v_add_f64 v[72:73], v[72:73], v[64:65]
	v_add_f64 v[74:75], v[74:75], v[66:67]
	v_fma_f64 v[90:91], v[76:77], s[22:23], v[0:1]
	v_mul_f64 v[96:97], v[68:69], s[54:55]
	v_mul_f64 v[98:99], v[70:71], s[54:55]
	;; [unrolled: 1-line block ×5, first 2 shown]
	v_add_f64 v[0:1], v[72:73], v[56:57]
	v_mul_f64 v[56:57], v[70:71], s[58:59]
	v_mul_f64 v[116:117], v[70:71], s[30:31]
	v_fma_f64 v[135:136], v[76:77], s[34:35], -v[118:119]
	v_fma_f64 v[137:138], v[78:79], s[34:35], v[129:130]
	v_fma_f64 v[118:119], v[76:77], s[34:35], v[118:119]
	v_fma_f64 v[129:130], v[78:79], s[34:35], -v[129:130]
	v_mul_f64 v[68:69], v[68:69], s[52:53]
	v_mul_f64 v[70:71], v[70:71], s[52:53]
	v_add_f64 v[52:53], v[52:53], v[64:65]
	v_add_f64 v[54:55], v[54:55], v[66:67]
	v_mul_f64 v[64:65], v[139:140], s[50:51]
	v_mul_f64 v[66:67], v[141:142], s[50:51]
	v_fma_f64 v[92:93], v[78:79], s[22:23], -v[2:3]
	v_add_f64 v[82:83], v[48:49], v[82:83]
	v_add_f64 v[84:85], v[50:51], v[84:85]
	;; [unrolled: 1-line block ×3, first 2 shown]
	v_fma_f64 v[58:59], v[76:77], s[12:13], -v[80:81]
	v_fma_f64 v[72:73], v[78:79], s[12:13], v[86:87]
	v_fma_f64 v[74:75], v[76:77], s[12:13], v[80:81]
	v_fma_f64 v[80:81], v[78:79], s[12:13], -v[86:87]
	v_fma_f64 v[86:87], v[76:77], s[18:19], -v[88:89]
	v_fma_f64 v[94:95], v[78:79], s[18:19], v[56:57]
	v_fma_f64 v[88:89], v[76:77], s[18:19], v[88:89]
	v_fma_f64 v[56:57], v[78:79], s[18:19], -v[56:57]
	;; [unrolled: 4-line block ×6, first 2 shown]
	v_add_f64 v[76:77], v[48:49], v[118:119]
	v_add_f64 v[78:79], v[50:51], v[129:130]
	v_fma_f64 v[118:119], v[52:53], s[12:13], -v[64:65]
	v_fma_f64 v[129:130], v[54:55], s[12:13], v[66:67]
	v_add_f64 v[90:91], v[48:49], v[90:91]
	v_add_f64 v[92:93], v[50:51], v[92:93]
	;; [unrolled: 1-line block ×28, first 2 shown]
	v_mul_f64 v[68:69], v[139:140], s[54:55]
	v_mul_f64 v[70:71], v[141:142], s[54:55]
	v_add_f64 v[82:83], v[118:119], v[82:83]
	v_add_f64 v[84:85], v[129:130], v[84:85]
	v_mul_f64 v[118:119], v[139:140], s[30:31]
	v_mul_f64 v[129:130], v[141:142], s[30:31]
	v_fma_f64 v[64:65], v[52:53], s[12:13], v[64:65]
	v_fma_f64 v[66:67], v[54:55], s[12:13], -v[66:67]
	v_fma_f64 v[147:148], v[52:53], s[6:7], -v[68:69]
	v_fma_f64 v[149:150], v[54:55], s[6:7], v[70:71]
	v_fma_f64 v[68:69], v[52:53], s[6:7], v[68:69]
	v_fma_f64 v[70:71], v[54:55], s[6:7], -v[70:71]
	v_fma_f64 v[151:152], v[52:53], s[28:29], -v[118:119]
	v_fma_f64 v[153:154], v[54:55], s[28:29], v[129:130]
	v_add_f64 v[64:65], v[64:65], v[90:91]
	v_add_f64 v[66:67], v[66:67], v[92:93]
	v_mul_f64 v[90:91], v[141:142], s[52:53]
	v_mul_f64 v[92:93], v[139:140], s[62:63]
	v_add_f64 v[68:69], v[68:69], v[74:75]
	v_add_f64 v[70:71], v[70:71], v[80:81]
	;; [unrolled: 1-line block ×4, first 2 shown]
	v_mul_f64 v[86:87], v[139:140], s[52:53]
	v_mul_f64 v[94:95], v[141:142], s[62:63]
	v_add_f64 v[58:59], v[147:148], v[58:59]
	v_add_f64 v[72:73], v[149:150], v[72:73]
	v_fma_f64 v[149:150], v[54:55], s[56:57], v[90:91]
	v_fma_f64 v[90:91], v[54:55], s[56:57], -v[90:91]
	v_fma_f64 v[151:152], v[52:53], s[34:35], -v[92:93]
	v_fma_f64 v[118:119], v[52:53], s[28:29], v[118:119]
	v_fma_f64 v[147:148], v[52:53], s[56:57], -v[86:87]
	v_fma_f64 v[86:87], v[52:53], s[56:57], v[86:87]
	v_fma_f64 v[153:154], v[54:55], s[34:35], v[94:95]
	v_fma_f64 v[129:130], v[54:55], s[28:29], -v[129:130]
	v_add_f64 v[106:107], v[149:150], v[106:107]
	v_add_f64 v[90:91], v[90:91], v[98:99]
	v_fma_f64 v[92:93], v[52:53], s[34:35], v[92:93]
	v_add_f64 v[88:89], v[118:119], v[88:89]
	v_add_f64 v[104:105], v[147:148], v[104:105]
	;; [unrolled: 1-line block ×5, first 2 shown]
	v_mul_f64 v[110:111], v[139:140], s[60:61]
	v_mul_f64 v[112:113], v[141:142], s[60:61]
	v_add_f64 v[56:57], v[129:130], v[56:57]
	v_mul_f64 v[118:119], v[139:140], s[38:39]
	v_mul_f64 v[129:130], v[141:142], s[38:39]
	v_fma_f64 v[94:95], v[54:55], s[34:35], -v[94:95]
	v_add_f64 v[92:93], v[92:93], v[100:101]
	v_fma_f64 v[147:148], v[52:53], s[20:21], -v[110:111]
	v_fma_f64 v[149:150], v[54:55], s[20:21], v[112:113]
	v_fma_f64 v[110:111], v[52:53], s[20:21], v[110:111]
	v_fma_f64 v[112:113], v[54:55], s[20:21], -v[112:113]
	v_fma_f64 v[151:152], v[52:53], s[18:19], -v[118:119]
	v_fma_f64 v[153:154], v[54:55], s[18:19], v[129:130]
	v_add_f64 v[94:95], v[94:95], v[102:103]
	v_fma_f64 v[118:119], v[52:53], s[18:19], v[118:119]
	v_add_f64 v[100:101], v[147:148], v[131:132]
	v_add_f64 v[102:103], v[149:150], v[133:134]
	v_add_f64 v[131:132], v[46:47], -v[62:63]
	v_add_f64 v[133:134], v[44:45], -v[60:61]
	v_add_f64 v[110:111], v[110:111], v[114:115]
	v_add_f64 v[112:113], v[112:113], v[116:117]
	;; [unrolled: 1-line block ×4, first 2 shown]
	v_mul_f64 v[135:136], v[139:140], s[42:43]
	v_mul_f64 v[137:138], v[141:142], s[42:43]
	v_add_f64 v[44:45], v[44:45], v[60:61]
	v_add_f64 v[46:47], v[46:47], v[62:63]
	v_mul_f64 v[60:61], v[131:132], s[58:59]
	v_mul_f64 v[62:63], v[133:134], s[58:59]
	v_fma_f64 v[129:130], v[54:55], s[18:19], -v[129:130]
	v_add_f64 v[76:77], v[118:119], v[76:77]
	v_fma_f64 v[139:140], v[52:53], s[22:23], -v[135:136]
	v_fma_f64 v[141:142], v[54:55], s[22:23], v[137:138]
	v_fma_f64 v[52:53], v[52:53], s[22:23], v[135:136]
	v_fma_f64 v[54:55], v[54:55], s[22:23], -v[137:138]
	v_fma_f64 v[135:136], v[44:45], s[18:19], -v[60:61]
	v_fma_f64 v[137:138], v[46:47], s[18:19], v[62:63]
	v_add_f64 v[78:79], v[129:130], v[78:79]
	v_fma_f64 v[60:61], v[44:45], s[18:19], v[60:61]
	v_add_f64 v[118:119], v[139:140], v[143:144]
	v_add_f64 v[129:130], v[141:142], v[145:146]
	;; [unrolled: 1-line block ×6, first 2 shown]
	v_mul_f64 v[82:83], v[131:132], s[30:31]
	v_mul_f64 v[84:85], v[133:134], s[30:31]
	;; [unrolled: 1-line block ×3, first 2 shown]
	v_fma_f64 v[62:63], v[46:47], s[18:19], -v[62:63]
	v_mul_f64 v[137:138], v[133:134], s[66:67]
	v_add_f64 v[60:61], v[60:61], v[64:65]
	s_barrier
	v_fma_f64 v[139:140], v[44:45], s[28:29], -v[82:83]
	v_fma_f64 v[141:142], v[46:47], s[28:29], v[84:85]
	v_fma_f64 v[82:83], v[44:45], s[28:29], v[82:83]
	v_fma_f64 v[84:85], v[46:47], s[28:29], -v[84:85]
	v_fma_f64 v[143:144], v[44:45], s[56:57], -v[135:136]
	v_add_f64 v[62:63], v[62:63], v[66:67]
	v_fma_f64 v[145:146], v[46:47], s[56:57], v[137:138]
	v_add_f64 v[58:59], v[139:140], v[58:59]
	v_add_f64 v[64:65], v[141:142], v[72:73]
	;; [unrolled: 1-line block ×5, first 2 shown]
	v_mul_f64 v[72:73], v[131:132], s[60:61]
	v_mul_f64 v[74:75], v[133:134], s[60:61]
	v_fma_f64 v[82:83], v[46:47], s[56:57], -v[137:138]
	v_add_f64 v[139:140], v[145:146], v[80:81]
	v_fma_f64 v[80:81], v[44:45], s[56:57], v[135:136]
	v_mul_f64 v[84:85], v[131:132], s[40:41]
	v_mul_f64 v[135:136], v[133:134], s[40:41]
	v_fma_f64 v[137:138], v[44:45], s[20:21], -v[72:73]
	v_fma_f64 v[141:142], v[46:47], s[20:21], v[74:75]
	v_fma_f64 v[72:73], v[44:45], s[20:21], v[72:73]
	v_fma_f64 v[74:75], v[46:47], s[20:21], -v[74:75]
	v_add_f64 v[143:144], v[80:81], v[88:89]
	v_add_f64 v[56:57], v[82:83], v[56:57]
	v_fma_f64 v[80:81], v[44:45], s[12:13], -v[84:85]
	v_fma_f64 v[82:83], v[46:47], s[12:13], v[135:136]
	v_add_f64 v[104:105], v[137:138], v[104:105]
	v_add_f64 v[106:107], v[141:142], v[106:107]
	;; [unrolled: 1-line block ×4, first 2 shown]
	v_mul_f64 v[72:73], v[131:132], s[48:49]
	v_mul_f64 v[74:75], v[133:134], s[48:49]
	v_add_f64 v[145:146], v[80:81], v[96:97]
	v_add_f64 v[147:148], v[82:83], v[98:99]
	v_mul_f64 v[80:81], v[131:132], s[54:55]
	v_mul_f64 v[82:83], v[133:134], s[54:55]
	v_fma_f64 v[84:85], v[44:45], s[12:13], v[84:85]
	v_fma_f64 v[86:87], v[46:47], s[12:13], -v[135:136]
	v_fma_f64 v[88:89], v[44:45], s[22:23], -v[72:73]
	v_fma_f64 v[90:91], v[46:47], s[22:23], v[74:75]
	v_fma_f64 v[72:73], v[44:45], s[22:23], v[72:73]
	v_fma_f64 v[74:75], v[46:47], s[22:23], -v[74:75]
	v_fma_f64 v[96:97], v[44:45], s[6:7], -v[80:81]
	v_fma_f64 v[98:99], v[46:47], s[6:7], v[82:83]
	v_add_f64 v[135:136], v[84:85], v[92:93]
	v_add_f64 v[149:150], v[86:87], v[94:95]
	v_fma_f64 v[84:85], v[44:45], s[6:7], v[80:81]
	v_fma_f64 v[86:87], v[46:47], s[6:7], -v[82:83]
	v_add_f64 v[110:111], v[72:73], v[110:111]
	v_add_f64 v[112:113], v[74:75], v[112:113]
	v_mul_f64 v[72:73], v[131:132], s[36:37]
	v_mul_f64 v[74:75], v[133:134], s[36:37]
	v_add_f64 v[80:81], v[36:37], v[40:41]
	v_add_f64 v[82:83], v[38:39], v[42:43]
	;; [unrolled: 1-line block ×4, first 2 shown]
	v_mul_f64 v[36:37], v[155:156], s[54:55]
	v_mul_f64 v[38:39], v[157:158], s[54:55]
	v_fma_f64 v[40:41], v[44:45], s[34:35], -v[72:73]
	v_fma_f64 v[42:43], v[46:47], s[34:35], v[74:75]
	v_fma_f64 v[44:45], v[44:45], s[34:35], v[72:73]
	v_fma_f64 v[46:47], v[46:47], s[34:35], -v[74:75]
	v_add_f64 v[151:152], v[88:89], v[100:101]
	v_add_f64 v[153:154], v[90:91], v[102:103]
	v_fma_f64 v[72:73], v[80:81], s[6:7], -v[36:37]
	v_fma_f64 v[74:75], v[82:83], s[6:7], v[38:39]
	v_add_f64 v[96:97], v[40:41], v[118:119]
	v_add_f64 v[98:99], v[42:43], v[129:130]
	v_mul_f64 v[40:41], v[155:156], s[52:53]
	v_mul_f64 v[42:43], v[157:158], s[52:53]
	v_add_f64 v[88:89], v[44:45], v[48:49]
	v_add_f64 v[90:91], v[46:47], v[50:51]
	v_fma_f64 v[36:37], v[80:81], s[6:7], v[36:37]
	v_fma_f64 v[38:39], v[82:83], s[6:7], -v[38:39]
	v_mul_f64 v[44:45], v[155:156], s[60:61]
	v_mul_f64 v[46:47], v[157:158], s[60:61]
	v_fma_f64 v[48:49], v[80:81], s[56:57], -v[40:41]
	v_fma_f64 v[50:51], v[82:83], s[56:57], v[42:43]
	v_fma_f64 v[40:41], v[80:81], s[56:57], v[40:41]
	v_fma_f64 v[42:43], v[82:83], s[56:57], -v[42:43]
	v_add_f64 v[92:93], v[84:85], v[76:77]
	v_add_f64 v[94:95], v[86:87], v[78:79]
	;; [unrolled: 1-line block ×6, first 2 shown]
	v_fma_f64 v[36:37], v[80:81], s[20:21], -v[44:45]
	v_fma_f64 v[38:39], v[82:83], s[20:21], v[46:47]
	v_add_f64 v[78:79], v[50:51], v[64:65]
	v_add_f64 v[50:51], v[40:41], v[66:67]
	;; [unrolled: 1-line block ×3, first 2 shown]
	v_mul_f64 v[40:41], v[155:156], s[42:43]
	v_mul_f64 v[42:43], v[157:158], s[42:43]
	v_add_f64 v[76:77], v[48:49], v[58:59]
	v_add_f64 v[68:69], v[36:37], v[70:71]
	;; [unrolled: 1-line block ×3, first 2 shown]
	v_mul_f64 v[36:37], v[155:156], s[58:59]
	v_mul_f64 v[38:39], v[157:158], s[58:59]
	v_fma_f64 v[46:47], v[82:83], s[20:21], -v[46:47]
	v_fma_f64 v[48:49], v[80:81], s[22:23], -v[40:41]
	v_fma_f64 v[52:53], v[82:83], s[22:23], v[42:43]
	v_fma_f64 v[40:41], v[80:81], s[22:23], v[40:41]
	;; [unrolled: 1-line block ×3, first 2 shown]
	v_fma_f64 v[42:43], v[82:83], s[22:23], -v[42:43]
	v_fma_f64 v[54:55], v[80:81], s[18:19], -v[36:37]
	v_fma_f64 v[58:59], v[82:83], s[18:19], v[38:39]
	v_add_f64 v[100:101], v[46:47], v[56:57]
	v_fma_f64 v[36:37], v[80:81], s[18:19], v[36:37]
	v_add_f64 v[106:107], v[52:53], v[106:107]
	v_add_f64 v[46:47], v[40:41], v[137:138]
	v_mul_f64 v[40:41], v[155:156], s[36:37]
	v_mul_f64 v[52:53], v[157:158], s[36:37]
	v_fma_f64 v[38:39], v[82:83], s[18:19], -v[38:39]
	v_mul_f64 v[118:119], v[155:156], s[64:65]
	v_mul_f64 v[129:130], v[157:158], s[64:65]
	v_add_f64 v[66:67], v[44:45], v[143:144]
	v_add_f64 v[102:103], v[48:49], v[104:105]
	;; [unrolled: 1-line block ×5, first 2 shown]
	v_fma_f64 v[54:55], v[80:81], s[34:35], -v[40:41]
	v_fma_f64 v[56:57], v[82:83], s[34:35], v[52:53]
	v_fma_f64 v[58:59], v[80:81], s[34:35], v[40:41]
	v_fma_f64 v[60:61], v[82:83], s[34:35], -v[52:53]
	v_add_f64 v[40:41], v[36:37], v[135:136]
	v_add_f64 v[52:53], v[38:39], v[149:150]
	v_fma_f64 v[36:37], v[80:81], s[28:29], -v[118:119]
	v_fma_f64 v[38:39], v[82:83], s[28:29], v[129:130]
	v_add_f64 v[54:55], v[54:55], v[151:152]
	v_add_f64 v[56:57], v[56:57], v[153:154]
	;; [unrolled: 1-line block ×4, first 2 shown]
	v_mul_f64 v[110:111], v[155:156], s[40:41]
	v_mul_f64 v[112:113], v[157:158], s[40:41]
	v_add_f64 v[62:63], v[36:37], v[114:115]
	v_add_f64 v[104:105], v[38:39], v[116:117]
	v_add_f64 v[38:39], v[30:31], -v[34:35]
	v_add_f64 v[36:37], v[28:29], -v[32:33]
	v_fma_f64 v[114:115], v[80:81], s[28:29], v[118:119]
	v_fma_f64 v[116:117], v[82:83], s[28:29], -v[129:130]
	v_fma_f64 v[118:119], v[80:81], s[12:13], -v[110:111]
	v_fma_f64 v[129:130], v[82:83], s[12:13], v[112:113]
	v_add_f64 v[28:29], v[28:29], v[32:33]
	v_add_f64 v[30:31], v[30:31], v[34:35]
	v_mul_f64 v[32:33], v[38:39], s[26:27]
	v_mul_f64 v[34:35], v[36:37], s[26:27]
	v_fma_f64 v[110:111], v[80:81], s[12:13], v[110:111]
	v_fma_f64 v[112:113], v[82:83], s[12:13], -v[112:113]
	v_add_f64 v[94:95], v[116:117], v[94:95]
	v_add_f64 v[80:81], v[118:119], v[96:97]
	;; [unrolled: 1-line block ×3, first 2 shown]
	v_mul_f64 v[116:117], v[36:37], s[40:41]
	v_fma_f64 v[96:97], v[28:29], s[20:21], -v[32:33]
	v_fma_f64 v[98:99], v[30:31], s[20:21], v[34:35]
	v_add_f64 v[88:89], v[110:111], v[88:89]
	v_add_f64 v[90:91], v[112:113], v[90:91]
	v_mul_f64 v[110:111], v[38:39], s[62:63]
	v_mul_f64 v[112:113], v[36:37], s[62:63]
	v_fma_f64 v[32:33], v[28:29], s[20:21], v[32:33]
	v_fma_f64 v[34:35], v[30:31], s[20:21], -v[34:35]
	v_add_f64 v[92:93], v[114:115], v[92:93]
	v_add_f64 v[84:85], v[96:97], v[84:85]
	;; [unrolled: 1-line block ×3, first 2 shown]
	v_mul_f64 v[114:115], v[38:39], s[40:41]
	v_fma_f64 v[96:97], v[28:29], s[34:35], -v[110:111]
	v_fma_f64 v[98:99], v[30:31], s[34:35], v[112:113]
	v_add_f64 v[72:73], v[32:33], v[72:73]
	v_add_f64 v[74:75], v[34:35], v[74:75]
	v_fma_f64 v[32:33], v[28:29], s[34:35], v[110:111]
	v_fma_f64 v[34:35], v[30:31], s[34:35], -v[112:113]
	v_fma_f64 v[112:113], v[30:31], s[12:13], v[116:117]
	v_mul_f64 v[118:119], v[38:39], s[58:59]
	v_fma_f64 v[110:111], v[28:29], s[12:13], -v[114:115]
	v_add_f64 v[76:77], v[96:97], v[76:77]
	v_mul_f64 v[129:130], v[36:37], s[58:59]
	v_add_f64 v[78:79], v[98:99], v[78:79]
	v_add_f64 v[96:97], v[32:33], v[50:51]
	v_fma_f64 v[32:33], v[28:29], s[12:13], v[114:115]
	v_add_f64 v[70:71], v[112:113], v[70:71]
	v_fma_f64 v[50:51], v[28:29], s[18:19], -v[118:119]
	v_mul_f64 v[112:113], v[38:39], s[52:53]
	v_add_f64 v[98:99], v[34:35], v[64:65]
	v_add_f64 v[68:69], v[110:111], v[68:69]
	v_fma_f64 v[34:35], v[30:31], s[12:13], -v[116:117]
	v_fma_f64 v[110:111], v[30:31], s[18:19], v[129:130]
	v_mul_f64 v[114:115], v[36:37], s[52:53]
	v_add_f64 v[64:65], v[32:33], v[66:67]
	v_add_f64 v[32:33], v[50:51], v[102:103]
	v_fma_f64 v[50:51], v[28:29], s[56:57], -v[112:113]
	v_mul_f64 v[102:103], v[36:37], s[48:49]
	v_fma_f64 v[116:117], v[28:29], s[18:19], v[118:119]
	v_fma_f64 v[118:119], v[30:31], s[18:19], -v[129:130]
	v_add_f64 v[66:67], v[34:35], v[100:101]
	v_add_f64 v[34:35], v[110:111], v[106:107]
	v_fma_f64 v[100:101], v[30:31], s[56:57], v[114:115]
	v_mul_f64 v[106:107], v[38:39], s[44:45]
	v_add_f64 v[42:43], v[50:51], v[42:43]
	v_fma_f64 v[50:51], v[28:29], s[56:57], v[112:113]
	v_fma_f64 v[129:130], v[30:31], s[22:23], v[102:103]
	v_mul_f64 v[110:111], v[36:37], s[44:45]
	v_fma_f64 v[112:113], v[30:31], s[56:57], -v[114:115]
	v_add_f64 v[46:47], v[116:117], v[46:47]
	v_add_f64 v[44:45], v[100:101], v[44:45]
	v_mul_f64 v[100:101], v[38:39], s[48:49]
	v_fma_f64 v[114:115], v[28:29], s[6:7], -v[106:107]
	v_fma_f64 v[106:107], v[28:29], s[6:7], v[106:107]
	v_add_f64 v[50:51], v[50:51], v[40:41]
	v_add_f64 v[40:41], v[129:130], v[104:105]
	v_add_f64 v[104:105], v[22:23], -v[26:27]
	v_add_f64 v[48:49], v[118:119], v[48:49]
	v_fma_f64 v[116:117], v[30:31], s[6:7], v[110:111]
	v_fma_f64 v[110:111], v[30:31], s[6:7], -v[110:111]
	v_fma_f64 v[118:119], v[28:29], s[22:23], -v[100:101]
	v_add_f64 v[58:59], v[106:107], v[58:59]
	v_add_f64 v[106:107], v[20:21], -v[24:25]
	v_mul_f64 v[38:39], v[38:39], s[30:31]
	v_mul_f64 v[36:37], v[36:37], s[30:31]
	v_fma_f64 v[100:101], v[28:29], s[22:23], v[100:101]
	v_add_f64 v[20:21], v[20:21], v[24:25]
	v_mul_f64 v[24:25], v[104:105], s[30:31]
	v_add_f64 v[52:53], v[112:113], v[52:53]
	v_add_f64 v[60:61], v[110:111], v[60:61]
	v_fma_f64 v[102:103], v[30:31], s[22:23], -v[102:103]
	v_add_f64 v[22:23], v[22:23], v[26:27]
	v_mul_f64 v[26:27], v[106:107], s[30:31]
	v_fma_f64 v[110:111], v[28:29], s[28:29], -v[38:39]
	v_fma_f64 v[112:113], v[30:31], s[28:29], v[36:37]
	v_fma_f64 v[28:29], v[28:29], s[28:29], v[38:39]
	v_fma_f64 v[30:31], v[30:31], s[28:29], -v[36:37]
	v_add_f64 v[36:37], v[100:101], v[92:93]
	v_fma_f64 v[92:93], v[20:21], s[28:29], -v[24:25]
	v_add_f64 v[38:39], v[102:103], v[94:95]
	v_fma_f64 v[94:95], v[22:23], s[28:29], v[26:27]
	v_fma_f64 v[24:25], v[20:21], s[28:29], v[24:25]
	v_fma_f64 v[26:27], v[22:23], s[28:29], -v[26:27]
	v_add_f64 v[28:29], v[28:29], v[88:89]
	v_mul_f64 v[88:89], v[104:105], s[60:61]
	v_add_f64 v[30:31], v[30:31], v[90:91]
	v_add_f64 v[84:85], v[92:93], v[84:85]
	v_mul_f64 v[92:93], v[104:105], s[48:49]
	v_mul_f64 v[90:91], v[106:107], s[60:61]
	v_add_f64 v[86:87], v[94:95], v[86:87]
	v_mul_f64 v[94:95], v[106:107], s[48:49]
	v_add_f64 v[24:25], v[24:25], v[72:73]
	v_fma_f64 v[100:101], v[20:21], s[20:21], -v[88:89]
	v_fma_f64 v[88:89], v[20:21], s[20:21], v[88:89]
	v_add_f64 v[26:27], v[26:27], v[74:75]
	v_fma_f64 v[72:73], v[20:21], s[22:23], -v[92:93]
	v_fma_f64 v[102:103], v[22:23], s[20:21], v[90:91]
	v_fma_f64 v[90:91], v[22:23], s[20:21], -v[90:91]
	v_fma_f64 v[74:75], v[22:23], s[22:23], v[94:95]
	v_add_f64 v[54:55], v[114:115], v[54:55]
	v_add_f64 v[100:101], v[100:101], v[76:77]
	v_mul_f64 v[76:77], v[104:105], s[36:37]
	v_add_f64 v[88:89], v[88:89], v[96:97]
	v_add_f64 v[68:69], v[72:73], v[68:69]
	v_fma_f64 v[72:73], v[20:21], s[22:23], v[92:93]
	v_mul_f64 v[92:93], v[104:105], s[44:45]
	v_add_f64 v[102:103], v[102:103], v[78:79]
	v_mul_f64 v[78:79], v[106:107], s[36:37]
	v_add_f64 v[70:71], v[74:75], v[70:71]
	v_fma_f64 v[74:75], v[22:23], s[22:23], -v[94:95]
	v_mul_f64 v[94:95], v[106:107], s[44:45]
	v_fma_f64 v[96:97], v[20:21], s[34:35], -v[76:77]
	v_fma_f64 v[76:77], v[20:21], s[34:35], v[76:77]
	v_add_f64 v[64:65], v[72:73], v[64:65]
	v_fma_f64 v[72:73], v[20:21], s[6:7], -v[92:93]
	v_add_f64 v[90:91], v[90:91], v[98:99]
	v_fma_f64 v[98:99], v[22:23], s[34:35], v[78:79]
	v_fma_f64 v[78:79], v[22:23], s[34:35], -v[78:79]
	v_add_f64 v[66:67], v[74:75], v[66:67]
	v_fma_f64 v[74:75], v[22:23], s[6:7], v[94:95]
	v_add_f64 v[46:47], v[76:77], v[46:47]
	v_mul_f64 v[76:77], v[104:105], s[50:51]
	v_add_f64 v[42:43], v[72:73], v[42:43]
	v_mul_f64 v[72:73], v[106:107], s[52:53]
	v_add_f64 v[82:83], v[112:113], v[82:83]
	v_add_f64 v[32:33], v[96:97], v[32:33]
	;; [unrolled: 1-line block ×3, first 2 shown]
	v_mul_f64 v[78:79], v[106:107], s[50:51]
	v_add_f64 v[74:75], v[74:75], v[44:45]
	v_mul_f64 v[44:45], v[104:105], s[52:53]
	v_fma_f64 v[92:93], v[20:21], s[6:7], v[92:93]
	v_fma_f64 v[94:95], v[22:23], s[6:7], -v[94:95]
	v_fma_f64 v[96:97], v[20:21], s[12:13], -v[76:77]
	v_fma_f64 v[112:113], v[22:23], s[56:57], v[72:73]
	v_add_f64 v[56:57], v[116:117], v[56:57]
	v_add_f64 v[62:63], v[118:119], v[62:63]
	;; [unrolled: 1-line block ×4, first 2 shown]
	v_fma_f64 v[98:99], v[22:23], s[12:13], v[78:79]
	v_fma_f64 v[110:111], v[20:21], s[56:57], -v[44:45]
	v_add_f64 v[50:51], v[92:93], v[50:51]
	v_add_f64 v[92:93], v[94:95], v[52:53]
	v_add_f64 v[94:95], v[96:97], v[54:55]
	v_add_f64 v[96:97], v[112:113], v[40:41]
	v_mul_f64 v[40:41], v[104:105], s[38:39]
	v_mul_f64 v[52:53], v[106:107], s[38:39]
	v_add_f64 v[56:57], v[98:99], v[56:57]
	v_add_f64 v[62:63], v[110:111], v[62:63]
	v_add_f64 v[98:99], v[14:15], -v[18:19]
	v_add_f64 v[110:111], v[12:13], -v[16:17]
	v_add_f64 v[104:105], v[12:13], v[16:17]
	v_add_f64 v[106:107], v[14:15], v[18:19]
	v_fma_f64 v[16:17], v[20:21], s[18:19], -v[40:41]
	v_fma_f64 v[18:19], v[22:23], s[18:19], v[52:53]
	v_fma_f64 v[76:77], v[20:21], s[12:13], v[76:77]
	v_fma_f64 v[78:79], v[22:23], s[12:13], -v[78:79]
	v_fma_f64 v[44:45], v[20:21], s[56:57], v[44:45]
	v_fma_f64 v[54:55], v[22:23], s[56:57], -v[72:73]
	v_mul_f64 v[12:13], v[98:99], s[36:37]
	v_mul_f64 v[14:15], v[110:111], s[36:37]
	v_fma_f64 v[20:21], v[20:21], s[18:19], v[40:41]
	v_fma_f64 v[22:23], v[22:23], s[18:19], -v[52:53]
	v_add_f64 v[116:117], v[16:17], v[80:81]
	v_add_f64 v[118:119], v[18:19], v[82:83]
	v_mul_f64 v[16:17], v[98:99], s[38:39]
	v_mul_f64 v[18:19], v[110:111], s[38:39]
	v_add_f64 v[58:59], v[76:77], v[58:59]
	v_add_f64 v[112:113], v[44:45], v[36:37]
	;; [unrolled: 1-line block ×3, first 2 shown]
	v_fma_f64 v[36:37], v[104:105], s[34:35], -v[12:13]
	v_fma_f64 v[38:39], v[106:107], s[34:35], v[14:15]
	v_add_f64 v[72:73], v[20:21], v[28:29]
	v_add_f64 v[76:77], v[22:23], v[30:31]
	v_fma_f64 v[12:13], v[104:105], s[34:35], v[12:13]
	v_fma_f64 v[14:15], v[106:107], s[34:35], -v[14:15]
	v_mul_f64 v[20:21], v[98:99], s[54:55]
	v_mul_f64 v[22:23], v[110:111], s[54:55]
	v_fma_f64 v[28:29], v[104:105], s[18:19], -v[16:17]
	v_fma_f64 v[30:31], v[106:107], s[18:19], v[18:19]
	v_add_f64 v[60:61], v[78:79], v[60:61]
	v_add_f64 v[78:79], v[36:37], v[84:85]
	;; [unrolled: 1-line block ×4, first 2 shown]
	v_fma_f64 v[24:25], v[104:105], s[6:7], -v[20:21]
	v_fma_f64 v[26:27], v[106:107], s[6:7], v[22:23]
	v_add_f64 v[12:13], v[28:29], v[100:101]
	v_add_f64 v[14:15], v[30:31], v[102:103]
	v_mul_f64 v[28:29], v[98:99], s[64:65]
	v_mul_f64 v[30:31], v[110:111], s[64:65]
	v_add_f64 v[80:81], v[38:39], v[86:87]
	v_fma_f64 v[20:21], v[104:105], s[6:7], v[20:21]
	v_add_f64 v[68:69], v[24:25], v[68:69]
	v_add_f64 v[70:71], v[26:27], v[70:71]
	v_fma_f64 v[22:23], v[106:107], s[6:7], -v[22:23]
	v_mul_f64 v[24:25], v[98:99], s[48:49]
	v_mul_f64 v[26:27], v[110:111], s[48:49]
	v_fma_f64 v[36:37], v[104:105], s[28:29], -v[28:29]
	v_fma_f64 v[38:39], v[106:107], s[28:29], v[30:31]
	v_fma_f64 v[28:29], v[104:105], s[28:29], v[28:29]
	v_fma_f64 v[30:31], v[106:107], s[28:29], -v[30:31]
	v_add_f64 v[52:53], v[20:21], v[64:65]
	v_add_f64 v[54:55], v[22:23], v[66:67]
	v_fma_f64 v[20:21], v[104:105], s[22:23], -v[24:25]
	v_fma_f64 v[22:23], v[106:107], s[22:23], v[26:27]
	v_fma_f64 v[16:17], v[104:105], s[18:19], v[16:17]
	v_add_f64 v[66:67], v[38:39], v[34:35]
	v_add_f64 v[38:39], v[28:29], v[46:47]
	;; [unrolled: 1-line block ×3, first 2 shown]
	v_mul_f64 v[28:29], v[98:99], s[52:53]
	v_mul_f64 v[30:31], v[110:111], s[52:53]
	v_fma_f64 v[18:19], v[106:107], s[18:19], -v[18:19]
	v_add_f64 v[64:65], v[36:37], v[32:33]
	v_add_f64 v[44:45], v[20:21], v[42:43]
	;; [unrolled: 1-line block ×3, first 2 shown]
	v_fma_f64 v[20:21], v[104:105], s[22:23], v[24:25]
	v_fma_f64 v[22:23], v[106:107], s[22:23], -v[26:27]
	v_mul_f64 v[74:75], v[98:99], s[40:41]
	v_fma_f64 v[24:25], v[104:105], s[56:57], -v[28:29]
	v_fma_f64 v[26:27], v[106:107], s[56:57], v[30:31]
	v_fma_f64 v[28:29], v[104:105], s[56:57], v[28:29]
	v_fma_f64 v[30:31], v[106:107], s[56:57], -v[30:31]
	v_add_f64 v[42:43], v[6:7], -v[10:11]
	v_add_f64 v[36:37], v[4:5], -v[8:9]
	v_add_f64 v[16:17], v[16:17], v[88:89]
	v_add_f64 v[18:19], v[18:19], v[90:91]
	v_mul_f64 v[86:87], v[110:111], s[40:41]
	v_add_f64 v[48:49], v[20:21], v[50:51]
	v_fma_f64 v[20:21], v[104:105], s[12:13], -v[74:75]
	v_add_f64 v[32:33], v[24:25], v[94:95]
	v_add_f64 v[34:35], v[26:27], v[56:57]
	;; [unrolled: 1-line block ×4, first 2 shown]
	v_mul_f64 v[88:89], v[98:99], s[26:27]
	v_mul_f64 v[90:91], v[110:111], s[26:27]
	v_add_f64 v[30:31], v[4:5], v[8:9]
	v_add_f64 v[28:29], v[6:7], v[10:11]
	v_mul_f64 v[4:5], v[42:43], s[52:53]
	v_mul_f64 v[6:7], v[36:37], s[52:53]
	v_add_f64 v[50:51], v[22:23], v[92:93]
	v_fma_f64 v[22:23], v[106:107], s[12:13], v[86:87]
	v_add_f64 v[20:21], v[20:21], v[62:63]
	v_fma_f64 v[58:59], v[106:107], s[12:13], -v[86:87]
	v_fma_f64 v[60:61], v[104:105], s[20:21], -v[88:89]
	v_fma_f64 v[62:63], v[106:107], s[20:21], v[90:91]
	v_fma_f64 v[8:9], v[104:105], s[20:21], v[88:89]
	v_fma_f64 v[10:11], v[106:107], s[20:21], -v[90:91]
	v_fma_f64 v[86:87], v[30:31], s[56:57], -v[4:5]
	v_fma_f64 v[88:89], v[28:29], s[56:57], v[6:7]
	v_mul_f64 v[90:91], v[42:43], s[42:43]
	v_mul_f64 v[92:93], v[36:37], s[42:43]
	v_fma_f64 v[4:5], v[30:31], s[56:57], v[4:5]
	v_fma_f64 v[56:57], v[104:105], s[12:13], v[74:75]
	v_fma_f64 v[6:7], v[28:29], s[56:57], -v[6:7]
	v_add_f64 v[74:75], v[8:9], v[72:73]
	v_add_f64 v[72:73], v[10:11], v[76:77]
	;; [unrolled: 1-line block ×4, first 2 shown]
	v_fma_f64 v[76:77], v[30:31], s[22:23], -v[90:91]
	v_fma_f64 v[78:79], v[28:29], s[22:23], v[92:93]
	v_add_f64 v[4:5], v[4:5], v[82:83]
	v_mul_f64 v[80:81], v[42:43], s[36:37]
	v_mul_f64 v[82:83], v[36:37], s[36:37]
	v_add_f64 v[6:7], v[6:7], v[84:85]
	v_fma_f64 v[84:85], v[30:31], s[22:23], v[90:91]
	v_fma_f64 v[86:87], v[28:29], s[22:23], -v[92:93]
	v_add_f64 v[12:13], v[76:77], v[12:13]
	v_add_f64 v[14:15], v[78:79], v[14:15]
	v_mul_f64 v[76:77], v[42:43], s[40:41]
	v_mul_f64 v[78:79], v[36:37], s[40:41]
	v_fma_f64 v[88:89], v[30:31], s[34:35], -v[80:81]
	v_fma_f64 v[90:91], v[28:29], s[34:35], v[82:83]
	v_add_f64 v[16:17], v[84:85], v[16:17]
	v_add_f64 v[18:19], v[86:87], v[18:19]
	v_fma_f64 v[80:81], v[30:31], s[34:35], v[80:81]
	v_fma_f64 v[82:83], v[28:29], s[34:35], -v[82:83]
	v_fma_f64 v[84:85], v[30:31], s[12:13], -v[76:77]
	v_fma_f64 v[86:87], v[28:29], s[12:13], v[78:79]
	v_add_f64 v[68:69], v[88:89], v[68:69]
	v_add_f64 v[70:71], v[90:91], v[70:71]
	v_mul_f64 v[88:89], v[42:43], s[30:31]
	v_mul_f64 v[90:91], v[36:37], s[30:31]
	v_add_f64 v[52:53], v[80:81], v[52:53]
	v_add_f64 v[54:55], v[82:83], v[54:55]
	;; [unrolled: 1-line block ×4, first 2 shown]
	v_fma_f64 v[76:77], v[30:31], s[12:13], v[76:77]
	v_fma_f64 v[78:79], v[28:29], s[12:13], -v[78:79]
	v_fma_f64 v[80:81], v[30:31], s[28:29], -v[88:89]
	v_fma_f64 v[82:83], v[28:29], s[28:29], v[90:91]
	v_mul_f64 v[84:85], v[42:43], s[38:39]
	v_mul_f64 v[86:87], v[36:37], s[38:39]
	v_add_f64 v[22:23], v[22:23], v[96:97]
	v_add_f64 v[56:57], v[56:57], v[112:113]
	;; [unrolled: 1-line block ×6, first 2 shown]
	v_fma_f64 v[76:77], v[30:31], s[18:19], -v[84:85]
	v_fma_f64 v[78:79], v[28:29], s[18:19], v[86:87]
	v_fma_f64 v[80:81], v[30:31], s[18:19], v[84:85]
	v_fma_f64 v[82:83], v[28:29], s[18:19], -v[86:87]
	v_mul_f64 v[84:85], v[42:43], s[26:27]
	v_mul_f64 v[86:87], v[36:37], s[26:27]
	;; [unrolled: 1-line block ×4, first 2 shown]
	v_add_f64 v[58:59], v[58:59], v[114:115]
	v_add_f64 v[62:63], v[62:63], v[118:119]
	;; [unrolled: 1-line block ×6, first 2 shown]
	v_fma_f64 v[76:77], v[30:31], s[20:21], -v[84:85]
	v_fma_f64 v[78:79], v[28:29], s[20:21], v[86:87]
	v_fma_f64 v[80:81], v[30:31], s[20:21], v[84:85]
	v_fma_f64 v[82:83], v[28:29], s[20:21], -v[86:87]
	v_fma_f64 v[86:87], v[28:29], s[6:7], v[36:37]
	v_fma_f64 v[36:37], v[28:29], s[6:7], -v[36:37]
	v_add_f64 v[60:61], v[60:61], v[116:117]
	v_fma_f64 v[88:89], v[30:31], s[28:29], v[88:89]
	v_fma_f64 v[90:91], v[28:29], s[28:29], -v[90:91]
	v_fma_f64 v[84:85], v[30:31], s[6:7], -v[42:43]
	v_fma_f64 v[42:43], v[30:31], s[6:7], v[42:43]
	v_add_f64 v[20:21], v[76:77], v[20:21]
	v_add_f64 v[22:23], v[78:79], v[22:23]
	;; [unrolled: 1-line block ×6, first 2 shown]
	v_mad_u32_u24 v36, v128, s25, v109
	v_lshlrev_b32_e32 v94, 8, v128
	v_add_f64 v[48:49], v[88:89], v[48:49]
	v_add_f64 v[50:51], v[90:91], v[50:51]
	;; [unrolled: 1-line block ×4, first 2 shown]
	ds_write_b128 v36, v[0:3]
	ds_write_b128 v36, v[8:11] offset:16
	ds_write_b128 v36, v[12:15] offset:32
	;; [unrolled: 1-line block ×16, first 2 shown]
	s_waitcnt lgkmcnt(0)
	s_barrier
	global_load_dwordx4 v[0:3], v94, s[46:47]
	global_load_dwordx4 v[4:7], v94, s[46:47] offset:16
	global_load_dwordx4 v[8:11], v94, s[46:47] offset:32
	;; [unrolled: 1-line block ×9, first 2 shown]
	ds_read_b128 v[36:39], v126 offset:272
	ds_read_b128 v[60:63], v108
	global_load_dwordx4 v[48:51], v94, s[46:47] offset:160
	global_load_dwordx4 v[64:67], v94, s[46:47] offset:176
	ds_read_b128 v[52:55], v126 offset:544
	ds_read_b128 v[56:59], v126 offset:816
	;; [unrolled: 1-line block ×4, first 2 shown]
	s_waitcnt vmcnt(11) lgkmcnt(5)
	v_mul_f64 v[24:25], v[38:39], v[2:3]
	v_mul_f64 v[2:3], v[36:37], v[2:3]
	s_waitcnt vmcnt(10) lgkmcnt(3)
	v_mul_f64 v[30:31], v[54:55], v[6:7]
	v_mul_f64 v[6:7], v[52:53], v[6:7]
	v_fma_f64 v[80:81], v[36:37], v[0:1], -v[24:25]
	v_fma_f64 v[82:83], v[38:39], v[0:1], v[2:3]
	v_fma_f64 v[84:85], v[52:53], v[4:5], -v[30:31]
	v_fma_f64 v[86:87], v[54:55], v[4:5], v[6:7]
	s_waitcnt vmcnt(9) lgkmcnt(2)
	v_mul_f64 v[4:5], v[58:59], v[10:11]
	global_load_dwordx4 v[0:3], v94, s[46:47] offset:208
	global_load_dwordx4 v[52:55], v94, s[46:47] offset:192
	v_mul_f64 v[10:11], v[56:57], v[10:11]
	s_waitcnt vmcnt(10) lgkmcnt(1)
	v_mul_f64 v[30:31], v[70:71], v[14:15]
	v_add_f64 v[6:7], v[60:61], v[80:81]
	v_add_f64 v[24:25], v[62:63], v[82:83]
	v_mul_f64 v[14:15], v[68:69], v[14:15]
	global_load_dwordx4 v[76:79], v94, s[46:47] offset:240
	v_fma_f64 v[88:89], v[56:57], v[8:9], -v[4:5]
	v_fma_f64 v[92:93], v[58:59], v[8:9], v[10:11]
	global_load_dwordx4 v[56:59], v94, s[46:47] offset:224
	v_add_f64 v[90:91], v[6:7], v[84:85]
	v_add_f64 v[8:9], v[24:25], v[86:87]
	v_fma_f64 v[36:37], v[68:69], v[12:13], -v[30:31]
	v_fma_f64 v[38:39], v[70:71], v[12:13], v[14:15]
	s_waitcnt vmcnt(11) lgkmcnt(0)
	v_mul_f64 v[12:13], v[74:75], v[18:19]
	v_mul_f64 v[18:19], v[72:73], v[18:19]
	ds_read_b128 v[4:7], v126 offset:1632
	v_add_f64 v[14:15], v[90:91], v[88:89]
	v_add_f64 v[68:69], v[8:9], v[92:93]
	ds_read_b128 v[8:11], v126 offset:1904
	s_waitcnt vmcnt(10) lgkmcnt(1)
	v_mul_f64 v[70:71], v[6:7], v[22:23]
	v_mul_f64 v[22:23], v[4:5], v[22:23]
	v_fma_f64 v[24:25], v[72:73], v[16:17], -v[12:13]
	v_fma_f64 v[30:31], v[74:75], v[16:17], v[18:19]
	ds_read_b128 v[16:19], v126 offset:2176
	v_add_f64 v[72:73], v[14:15], v[36:37]
	v_add_f64 v[68:69], v[68:69], v[38:39]
	v_fma_f64 v[12:13], v[4:5], v[20:21], -v[70:71]
	v_fma_f64 v[14:15], v[6:7], v[20:21], v[22:23]
	s_waitcnt vmcnt(9) lgkmcnt(1)
	v_mul_f64 v[4:5], v[10:11], v[28:29]
	v_mul_f64 v[20:21], v[8:9], v[28:29]
	v_add_f64 v[6:7], v[72:73], v[24:25]
	v_add_f64 v[22:23], v[68:69], v[30:31]
	ds_read_b128 v[68:71], v126 offset:2448
	s_waitcnt vmcnt(8) lgkmcnt(1)
	v_mul_f64 v[28:29], v[18:19], v[34:35]
	v_mul_f64 v[34:35], v[16:17], v[34:35]
	v_fma_f64 v[4:5], v[8:9], v[26:27], -v[4:5]
	v_add_f64 v[72:73], v[6:7], v[12:13]
	v_fma_f64 v[6:7], v[10:11], v[26:27], v[20:21]
	v_add_f64 v[22:23], v[22:23], v[14:15]
	v_fma_f64 v[20:21], v[16:17], v[32:33], -v[28:29]
	v_fma_f64 v[26:27], v[18:19], v[32:33], v[34:35]
	s_waitcnt vmcnt(7) lgkmcnt(0)
	v_mul_f64 v[28:29], v[70:71], v[42:43]
	v_mul_f64 v[34:35], v[68:69], v[42:43]
	ds_read_b128 v[8:11], v126 offset:2720
	ds_read_b128 v[16:19], v126 offset:2992
	v_add_f64 v[32:33], v[72:73], v[4:5]
	v_add_f64 v[42:43], v[22:23], v[6:7]
	s_waitcnt vmcnt(6) lgkmcnt(1)
	v_mul_f64 v[72:73], v[10:11], v[46:47]
	v_mul_f64 v[46:47], v[8:9], v[46:47]
	v_fma_f64 v[22:23], v[68:69], v[40:41], -v[28:29]
	v_fma_f64 v[28:29], v[70:71], v[40:41], v[34:35]
	s_waitcnt vmcnt(5) lgkmcnt(0)
	v_mul_f64 v[68:69], v[18:19], v[50:51]
	v_add_f64 v[32:33], v[32:33], v[20:21]
	v_add_f64 v[40:41], v[42:43], v[26:27]
	v_fma_f64 v[8:9], v[8:9], v[44:45], -v[72:73]
	v_fma_f64 v[10:11], v[10:11], v[44:45], v[46:47]
	v_mul_f64 v[44:45], v[16:17], v[50:51]
	v_fma_f64 v[16:17], v[16:17], v[48:49], -v[68:69]
	v_add_f64 v[46:47], v[32:33], v[22:23]
	v_add_f64 v[50:51], v[40:41], v[28:29]
	ds_read_b128 v[32:35], v126 offset:3264
	ds_read_b128 v[40:43], v126 offset:3536
	v_fma_f64 v[18:19], v[18:19], v[48:49], v[44:45]
	s_waitcnt vmcnt(4) lgkmcnt(1)
	v_mul_f64 v[70:71], v[34:35], v[66:67]
	v_mul_f64 v[72:73], v[32:33], v[66:67]
	v_add_f64 v[74:75], v[46:47], v[8:9]
	v_add_f64 v[90:91], v[50:51], v[10:11]
	ds_read_b128 v[44:47], v126 offset:3808
	ds_read_b128 v[48:51], v126 offset:4080
	;; [unrolled: 1-line block ×3, first 2 shown]
	v_fma_f64 v[32:33], v[32:33], v[64:65], -v[70:71]
	v_fma_f64 v[34:35], v[34:35], v[64:65], v[72:73]
	s_waitcnt vmcnt(2) lgkmcnt(3)
	v_mul_f64 v[64:65], v[42:43], v[54:55]
	v_mul_f64 v[54:55], v[40:41], v[54:55]
	v_add_f64 v[70:71], v[74:75], v[16:17]
	v_add_f64 v[72:73], v[90:91], v[18:19]
	s_waitcnt lgkmcnt(2)
	v_mul_f64 v[74:75], v[46:47], v[2:3]
	v_mul_f64 v[2:3], v[44:45], v[2:3]
	s_waitcnt vmcnt(1) lgkmcnt(0)
	v_mul_f64 v[90:91], v[66:67], v[78:79]
	v_mul_f64 v[78:79], v[68:69], v[78:79]
	v_fma_f64 v[40:41], v[40:41], v[52:53], -v[64:65]
	v_fma_f64 v[42:43], v[42:43], v[52:53], v[54:55]
	v_add_f64 v[52:53], v[70:71], v[32:33]
	v_add_f64 v[54:55], v[72:73], v[34:35]
	v_fma_f64 v[44:45], v[44:45], v[0:1], -v[74:75]
	v_fma_f64 v[46:47], v[46:47], v[0:1], v[2:3]
	s_waitcnt vmcnt(0)
	v_mul_f64 v[64:65], v[50:51], v[58:59]
	v_mul_f64 v[58:59], v[48:49], v[58:59]
	v_fma_f64 v[2:3], v[68:69], v[76:77], v[90:91]
	v_fma_f64 v[0:1], v[66:67], v[76:77], -v[78:79]
	v_add_f64 v[52:53], v[52:53], v[40:41]
	v_add_f64 v[54:55], v[54:55], v[42:43]
	v_fma_f64 v[48:49], v[48:49], v[56:57], -v[64:65]
	v_fma_f64 v[50:51], v[50:51], v[56:57], v[58:59]
	v_add_f64 v[66:67], v[82:83], -v[2:3]
	v_add_f64 v[68:69], v[80:81], -v[0:1]
	v_add_f64 v[52:53], v[52:53], v[44:45]
	v_add_f64 v[54:55], v[54:55], v[46:47]
	;; [unrolled: 1-line block ×4, first 2 shown]
	v_add_f64 v[139:140], v[84:85], -v[48:49]
	v_add_f64 v[137:138], v[86:87], -v[50:51]
	v_mul_f64 v[64:65], v[66:67], s[48:49]
	v_mul_f64 v[70:71], v[68:69], s[48:49]
	v_add_f64 v[52:53], v[52:53], v[48:49]
	v_add_f64 v[54:55], v[54:55], v[50:51]
	v_mul_f64 v[76:77], v[66:67], s[58:59]
	v_mul_f64 v[78:79], v[68:69], s[58:59]
	v_mul_f64 v[96:97], v[66:67], s[54:55]
	v_mul_f64 v[98:99], v[68:69], s[54:55]
	v_mul_f64 v[100:101], v[66:67], s[26:27]
	v_mul_f64 v[102:103], v[68:69], s[26:27]
	v_add_f64 v[0:1], v[52:53], v[0:1]
	v_add_f64 v[2:3], v[54:55], v[2:3]
	v_mul_f64 v[52:53], v[66:67], s[50:51]
	v_mul_f64 v[54:55], v[68:69], s[50:51]
	v_mul_f64 v[112:113], v[66:67], s[30:31]
	v_mul_f64 v[114:115], v[68:69], s[30:31]
	v_mul_f64 v[116:117], v[66:67], s[36:37]
	v_mul_f64 v[118:119], v[68:69], s[36:37]
	v_mul_f64 v[66:67], v[66:67], s[52:53]
	v_mul_f64 v[68:69], v[68:69], s[52:53]
	v_fma_f64 v[72:73], v[56:57], s[22:23], -v[64:65]
	v_fma_f64 v[74:75], v[58:59], s[22:23], v[70:71]
	v_fma_f64 v[64:65], v[56:57], s[22:23], v[64:65]
	v_fma_f64 v[70:71], v[58:59], s[22:23], -v[70:71]
	v_fma_f64 v[80:81], v[56:57], s[12:13], -v[52:53]
	v_fma_f64 v[82:83], v[58:59], s[12:13], v[54:55]
	v_fma_f64 v[52:53], v[56:57], s[12:13], v[52:53]
	v_fma_f64 v[54:55], v[58:59], s[12:13], -v[54:55]
	;; [unrolled: 4-line block ×7, first 2 shown]
	v_add_f64 v[48:49], v[84:85], v[48:49]
	v_add_f64 v[50:51], v[86:87], v[50:51]
	v_mul_f64 v[84:85], v[137:138], s[50:51]
	v_mul_f64 v[86:87], v[139:140], s[50:51]
	v_fma_f64 v[141:142], v[56:57], s[56:57], -v[66:67]
	v_fma_f64 v[143:144], v[58:59], s[56:57], v[68:69]
	v_fma_f64 v[56:57], v[56:57], s[56:57], v[66:67]
	v_fma_f64 v[58:59], v[58:59], s[56:57], -v[68:69]
	v_add_f64 v[72:73], v[60:61], v[72:73]
	v_add_f64 v[74:75], v[62:63], v[74:75]
	;; [unrolled: 1-line block ×28, first 2 shown]
	v_fma_f64 v[116:117], v[48:49], s[12:13], -v[84:85]
	v_fma_f64 v[118:119], v[50:51], s[12:13], v[86:87]
	v_add_f64 v[141:142], v[60:61], v[141:142]
	v_add_f64 v[143:144], v[62:63], v[143:144]
	;; [unrolled: 1-line block ×4, first 2 shown]
	v_mul_f64 v[60:61], v[137:138], s[54:55]
	v_mul_f64 v[62:63], v[139:140], s[54:55]
	v_add_f64 v[72:73], v[116:117], v[72:73]
	v_add_f64 v[74:75], v[118:119], v[74:75]
	v_fma_f64 v[84:85], v[48:49], s[12:13], v[84:85]
	v_fma_f64 v[86:87], v[50:51], s[12:13], -v[86:87]
	v_mul_f64 v[116:117], v[137:138], s[30:31]
	v_mul_f64 v[118:119], v[139:140], s[30:31]
	v_fma_f64 v[145:146], v[48:49], s[6:7], -v[60:61]
	v_fma_f64 v[147:148], v[50:51], s[6:7], v[62:63]
	v_fma_f64 v[60:61], v[48:49], s[6:7], v[60:61]
	v_fma_f64 v[62:63], v[50:51], s[6:7], -v[62:63]
	v_add_f64 v[64:65], v[84:85], v[64:65]
	v_add_f64 v[70:71], v[86:87], v[70:71]
	v_fma_f64 v[84:85], v[48:49], s[28:29], -v[116:117]
	v_fma_f64 v[86:87], v[50:51], s[28:29], v[118:119]
	v_add_f64 v[80:81], v[145:146], v[80:81]
	v_add_f64 v[82:83], v[147:148], v[82:83]
	;; [unrolled: 1-line block ×4, first 2 shown]
	v_mul_f64 v[60:61], v[137:138], s[52:53]
	v_mul_f64 v[62:63], v[139:140], s[52:53]
	v_add_f64 v[84:85], v[84:85], v[90:91]
	v_add_f64 v[86:87], v[86:87], v[94:95]
	v_fma_f64 v[90:91], v[48:49], s[28:29], v[116:117]
	v_fma_f64 v[94:95], v[50:51], s[28:29], -v[118:119]
	v_mul_f64 v[116:117], v[137:138], s[62:63]
	v_mul_f64 v[118:119], v[139:140], s[62:63]
	v_fma_f64 v[145:146], v[48:49], s[56:57], -v[60:61]
	v_fma_f64 v[147:148], v[50:51], s[56:57], v[62:63]
	v_fma_f64 v[60:61], v[48:49], s[56:57], v[60:61]
	v_fma_f64 v[62:63], v[50:51], s[56:57], -v[62:63]
	v_add_f64 v[76:77], v[90:91], v[76:77]
	v_add_f64 v[78:79], v[94:95], v[78:79]
	v_fma_f64 v[90:91], v[48:49], s[34:35], -v[116:117]
	v_fma_f64 v[94:95], v[50:51], s[34:35], v[118:119]
	v_add_f64 v[104:105], v[145:146], v[104:105]
	v_add_f64 v[106:107], v[147:148], v[106:107]
	;; [unrolled: 1-line block ×4, first 2 shown]
	v_mul_f64 v[96:97], v[137:138], s[60:61]
	v_mul_f64 v[98:99], v[139:140], s[60:61]
	v_add_f64 v[90:91], v[90:91], v[108:109]
	v_add_f64 v[94:95], v[94:95], v[110:111]
	v_mul_f64 v[108:109], v[137:138], s[38:39]
	v_mul_f64 v[110:111], v[139:140], s[38:39]
	v_fma_f64 v[116:117], v[48:49], s[34:35], v[116:117]
	v_fma_f64 v[118:119], v[50:51], s[34:35], -v[118:119]
	v_fma_f64 v[145:146], v[48:49], s[20:21], -v[96:97]
	v_fma_f64 v[147:148], v[50:51], s[20:21], v[98:99]
	v_fma_f64 v[96:97], v[48:49], s[20:21], v[96:97]
	v_fma_f64 v[98:99], v[50:51], s[20:21], -v[98:99]
	v_fma_f64 v[149:150], v[48:49], s[18:19], -v[108:109]
	v_fma_f64 v[151:152], v[50:51], s[18:19], v[110:111]
	v_add_f64 v[100:101], v[116:117], v[100:101]
	v_add_f64 v[102:103], v[118:119], v[102:103]
	v_add_f64 v[116:117], v[145:146], v[129:130]
	v_add_f64 v[118:119], v[147:148], v[131:132]
	v_add_f64 v[129:130], v[92:93], -v[46:47]
	v_add_f64 v[131:132], v[88:89], -v[44:45]
	v_add_f64 v[96:97], v[96:97], v[112:113]
	v_add_f64 v[98:99], v[98:99], v[114:115]
	;; [unrolled: 1-line block ×4, first 2 shown]
	v_mul_f64 v[133:134], v[137:138], s[42:43]
	v_mul_f64 v[135:136], v[139:140], s[42:43]
	v_fma_f64 v[108:109], v[48:49], s[18:19], v[108:109]
	v_fma_f64 v[110:111], v[50:51], s[18:19], -v[110:111]
	v_add_f64 v[44:45], v[88:89], v[44:45]
	v_add_f64 v[46:47], v[92:93], v[46:47]
	v_mul_f64 v[88:89], v[129:130], s[58:59]
	v_mul_f64 v[92:93], v[131:132], s[58:59]
	v_fma_f64 v[137:138], v[48:49], s[22:23], -v[133:134]
	v_fma_f64 v[139:140], v[50:51], s[22:23], v[135:136]
	v_fma_f64 v[48:49], v[48:49], s[22:23], v[133:134]
	v_fma_f64 v[50:51], v[50:51], s[22:23], -v[135:136]
	v_add_f64 v[66:67], v[108:109], v[66:67]
	v_add_f64 v[68:69], v[110:111], v[68:69]
	v_fma_f64 v[108:109], v[44:45], s[18:19], -v[88:89]
	v_fma_f64 v[110:111], v[46:47], s[18:19], v[92:93]
	v_fma_f64 v[88:89], v[44:45], s[18:19], v[88:89]
	v_fma_f64 v[92:93], v[46:47], s[18:19], -v[92:93]
	v_add_f64 v[48:49], v[48:49], v[56:57]
	v_add_f64 v[50:51], v[50:51], v[58:59]
	v_mul_f64 v[56:57], v[129:130], s[30:31]
	v_mul_f64 v[58:59], v[131:132], s[30:31]
	v_add_f64 v[72:73], v[108:109], v[72:73]
	v_add_f64 v[74:75], v[110:111], v[74:75]
	v_mul_f64 v[108:109], v[129:130], s[66:67]
	v_mul_f64 v[110:111], v[131:132], s[66:67]
	v_add_f64 v[133:134], v[137:138], v[141:142]
	v_add_f64 v[135:136], v[139:140], v[143:144]
	v_fma_f64 v[137:138], v[44:45], s[28:29], -v[56:57]
	v_fma_f64 v[139:140], v[46:47], s[28:29], v[58:59]
	v_fma_f64 v[56:57], v[44:45], s[28:29], v[56:57]
	v_fma_f64 v[58:59], v[46:47], s[28:29], -v[58:59]
	v_add_f64 v[64:65], v[88:89], v[64:65]
	v_add_f64 v[70:71], v[92:93], v[70:71]
	v_fma_f64 v[88:89], v[44:45], s[56:57], -v[108:109]
	v_fma_f64 v[92:93], v[46:47], s[56:57], v[110:111]
	v_add_f64 v[80:81], v[137:138], v[80:81]
	v_add_f64 v[82:83], v[139:140], v[82:83]
	;; [unrolled: 1-line block ×4, first 2 shown]
	v_mul_f64 v[56:57], v[129:130], s[60:61]
	v_mul_f64 v[58:59], v[131:132], s[60:61]
	v_add_f64 v[84:85], v[88:89], v[84:85]
	v_add_f64 v[86:87], v[92:93], v[86:87]
	v_fma_f64 v[88:89], v[44:45], s[56:57], v[108:109]
	v_fma_f64 v[92:93], v[46:47], s[56:57], -v[110:111]
	v_mul_f64 v[108:109], v[129:130], s[40:41]
	v_mul_f64 v[110:111], v[131:132], s[40:41]
	v_fma_f64 v[137:138], v[44:45], s[20:21], -v[56:57]
	v_fma_f64 v[139:140], v[46:47], s[20:21], v[58:59]
	v_fma_f64 v[56:57], v[44:45], s[20:21], v[56:57]
	v_fma_f64 v[58:59], v[46:47], s[20:21], -v[58:59]
	v_add_f64 v[76:77], v[88:89], v[76:77]
	v_add_f64 v[78:79], v[92:93], v[78:79]
	v_fma_f64 v[88:89], v[44:45], s[12:13], -v[108:109]
	v_fma_f64 v[92:93], v[46:47], s[12:13], v[110:111]
	v_add_f64 v[104:105], v[137:138], v[104:105]
	v_add_f64 v[106:107], v[139:140], v[106:107]
	;; [unrolled: 1-line block ×4, first 2 shown]
	v_mul_f64 v[60:61], v[129:130], s[48:49]
	v_mul_f64 v[62:63], v[131:132], s[48:49]
	v_add_f64 v[88:89], v[88:89], v[90:91]
	v_add_f64 v[90:91], v[92:93], v[94:95]
	v_mul_f64 v[92:93], v[129:130], s[54:55]
	v_mul_f64 v[94:95], v[131:132], s[54:55]
	v_fma_f64 v[108:109], v[44:45], s[12:13], v[108:109]
	v_fma_f64 v[110:111], v[46:47], s[12:13], -v[110:111]
	v_fma_f64 v[137:138], v[44:45], s[22:23], -v[60:61]
	v_fma_f64 v[139:140], v[46:47], s[22:23], v[62:63]
	v_fma_f64 v[60:61], v[44:45], s[22:23], v[60:61]
	v_fma_f64 v[62:63], v[46:47], s[22:23], -v[62:63]
	v_fma_f64 v[141:142], v[44:45], s[6:7], -v[92:93]
	v_fma_f64 v[143:144], v[46:47], s[6:7], v[94:95]
	v_add_f64 v[100:101], v[108:109], v[100:101]
	v_add_f64 v[102:103], v[110:111], v[102:103]
	;; [unrolled: 1-line block ×8, first 2 shown]
	v_add_f64 v[112:113], v[38:39], -v[42:43]
	v_add_f64 v[114:115], v[36:37], -v[40:41]
	v_mul_f64 v[116:117], v[129:130], s[36:37]
	v_mul_f64 v[118:119], v[131:132], s[36:37]
	v_fma_f64 v[92:93], v[44:45], s[6:7], v[92:93]
	v_fma_f64 v[94:95], v[46:47], s[6:7], -v[94:95]
	v_add_f64 v[36:37], v[36:37], v[40:41]
	v_add_f64 v[38:39], v[38:39], v[42:43]
	v_mul_f64 v[40:41], v[112:113], s[54:55]
	v_mul_f64 v[42:43], v[114:115], s[54:55]
	v_fma_f64 v[129:130], v[44:45], s[34:35], -v[116:117]
	v_fma_f64 v[131:132], v[46:47], s[34:35], v[118:119]
	v_fma_f64 v[44:45], v[44:45], s[34:35], v[116:117]
	v_fma_f64 v[46:47], v[46:47], s[34:35], -v[118:119]
	v_add_f64 v[66:67], v[92:93], v[66:67]
	v_add_f64 v[68:69], v[94:95], v[68:69]
	v_fma_f64 v[92:93], v[36:37], s[6:7], -v[40:41]
	v_fma_f64 v[94:95], v[38:39], s[6:7], v[42:43]
	v_fma_f64 v[40:41], v[36:37], s[6:7], v[40:41]
	v_fma_f64 v[42:43], v[38:39], s[6:7], -v[42:43]
	v_add_f64 v[44:45], v[44:45], v[48:49]
	v_add_f64 v[46:47], v[46:47], v[50:51]
	v_mul_f64 v[48:49], v[112:113], s[52:53]
	v_mul_f64 v[50:51], v[114:115], s[52:53]
	v_add_f64 v[72:73], v[92:93], v[72:73]
	v_add_f64 v[74:75], v[94:95], v[74:75]
	v_mul_f64 v[92:93], v[112:113], s[60:61]
	v_mul_f64 v[94:95], v[114:115], s[60:61]
	v_add_f64 v[116:117], v[129:130], v[133:134]
	v_add_f64 v[118:119], v[131:132], v[135:136]
	v_fma_f64 v[129:130], v[36:37], s[56:57], -v[48:49]
	v_fma_f64 v[131:132], v[38:39], s[56:57], v[50:51]
	v_fma_f64 v[48:49], v[36:37], s[56:57], v[48:49]
	v_fma_f64 v[50:51], v[38:39], s[56:57], -v[50:51]
	v_add_f64 v[40:41], v[40:41], v[64:65]
	v_add_f64 v[42:43], v[42:43], v[70:71]
	v_fma_f64 v[64:65], v[36:37], s[20:21], -v[92:93]
	v_fma_f64 v[70:71], v[38:39], s[20:21], v[94:95]
	v_add_f64 v[80:81], v[129:130], v[80:81]
	v_add_f64 v[82:83], v[131:132], v[82:83]
	;; [unrolled: 1-line block ×4, first 2 shown]
	v_mul_f64 v[52:53], v[112:113], s[42:43]
	v_mul_f64 v[54:55], v[114:115], s[42:43]
	v_add_f64 v[64:65], v[64:65], v[84:85]
	v_add_f64 v[70:71], v[70:71], v[86:87]
	v_fma_f64 v[84:85], v[36:37], s[20:21], v[92:93]
	v_fma_f64 v[86:87], v[38:39], s[20:21], -v[94:95]
	v_mul_f64 v[92:93], v[112:113], s[58:59]
	v_mul_f64 v[94:95], v[114:115], s[58:59]
	v_fma_f64 v[129:130], v[36:37], s[22:23], -v[52:53]
	v_fma_f64 v[131:132], v[38:39], s[22:23], v[54:55]
	v_fma_f64 v[52:53], v[36:37], s[22:23], v[52:53]
	v_fma_f64 v[54:55], v[38:39], s[22:23], -v[54:55]
	v_add_f64 v[76:77], v[84:85], v[76:77]
	v_add_f64 v[78:79], v[86:87], v[78:79]
	v_fma_f64 v[84:85], v[36:37], s[18:19], -v[92:93]
	v_fma_f64 v[86:87], v[38:39], s[18:19], v[94:95]
	v_add_f64 v[104:105], v[129:130], v[104:105]
	v_add_f64 v[106:107], v[131:132], v[106:107]
	v_add_f64 v[52:53], v[52:53], v[56:57]
	v_add_f64 v[54:55], v[54:55], v[58:59]
	v_mul_f64 v[56:57], v[112:113], s[36:37]
	v_mul_f64 v[58:59], v[114:115], s[36:37]
	v_add_f64 v[84:85], v[84:85], v[88:89]
	v_add_f64 v[86:87], v[86:87], v[90:91]
	v_mul_f64 v[88:89], v[112:113], s[64:65]
	v_mul_f64 v[90:91], v[114:115], s[64:65]
	v_fma_f64 v[92:93], v[36:37], s[18:19], v[92:93]
	v_fma_f64 v[94:95], v[38:39], s[18:19], -v[94:95]
	v_fma_f64 v[129:130], v[36:37], s[34:35], -v[56:57]
	v_fma_f64 v[131:132], v[38:39], s[34:35], v[58:59]
	v_fma_f64 v[56:57], v[36:37], s[34:35], v[56:57]
	v_fma_f64 v[58:59], v[38:39], s[34:35], -v[58:59]
	v_fma_f64 v[133:134], v[36:37], s[28:29], -v[88:89]
	v_fma_f64 v[135:136], v[38:39], s[28:29], v[90:91]
	v_add_f64 v[92:93], v[92:93], v[100:101]
	v_add_f64 v[94:95], v[94:95], v[102:103]
	;; [unrolled: 1-line block ×8, first 2 shown]
	v_add_f64 v[96:97], v[30:31], -v[34:35]
	v_add_f64 v[98:99], v[24:25], -v[32:33]
	v_mul_f64 v[108:109], v[112:113], s[40:41]
	v_mul_f64 v[110:111], v[114:115], s[40:41]
	v_fma_f64 v[88:89], v[36:37], s[28:29], v[88:89]
	v_fma_f64 v[90:91], v[38:39], s[28:29], -v[90:91]
	v_add_f64 v[24:25], v[24:25], v[32:33]
	v_add_f64 v[30:31], v[30:31], v[34:35]
	v_mul_f64 v[32:33], v[96:97], s[26:27]
	v_mul_f64 v[34:35], v[98:99], s[26:27]
	v_fma_f64 v[112:113], v[36:37], s[12:13], -v[108:109]
	v_fma_f64 v[114:115], v[38:39], s[12:13], v[110:111]
	v_fma_f64 v[36:37], v[36:37], s[12:13], v[108:109]
	v_fma_f64 v[38:39], v[38:39], s[12:13], -v[110:111]
	v_add_f64 v[66:67], v[88:89], v[66:67]
	v_add_f64 v[68:69], v[90:91], v[68:69]
	v_fma_f64 v[88:89], v[24:25], s[20:21], -v[32:33]
	v_fma_f64 v[90:91], v[30:31], s[20:21], v[34:35]
	v_fma_f64 v[32:33], v[24:25], s[20:21], v[32:33]
	v_fma_f64 v[34:35], v[30:31], s[20:21], -v[34:35]
	v_add_f64 v[36:37], v[36:37], v[44:45]
	v_add_f64 v[38:39], v[38:39], v[46:47]
	v_mul_f64 v[44:45], v[96:97], s[62:63]
	v_mul_f64 v[46:47], v[98:99], s[62:63]
	v_add_f64 v[72:73], v[88:89], v[72:73]
	v_add_f64 v[74:75], v[90:91], v[74:75]
	v_mul_f64 v[88:89], v[96:97], s[40:41]
	v_mul_f64 v[90:91], v[98:99], s[40:41]
	v_add_f64 v[108:109], v[112:113], v[116:117]
	v_add_f64 v[110:111], v[114:115], v[118:119]
	v_fma_f64 v[112:113], v[24:25], s[34:35], -v[44:45]
	v_fma_f64 v[114:115], v[30:31], s[34:35], v[46:47]
	v_fma_f64 v[44:45], v[24:25], s[34:35], v[44:45]
	v_fma_f64 v[46:47], v[30:31], s[34:35], -v[46:47]
	v_add_f64 v[32:33], v[32:33], v[40:41]
	v_add_f64 v[34:35], v[34:35], v[42:43]
	v_fma_f64 v[40:41], v[24:25], s[12:13], -v[88:89]
	v_fma_f64 v[42:43], v[30:31], s[12:13], v[90:91]
	v_add_f64 v[80:81], v[112:113], v[80:81]
	v_add_f64 v[82:83], v[114:115], v[82:83]
	;; [unrolled: 1-line block ×4, first 2 shown]
	v_mul_f64 v[48:49], v[96:97], s[58:59]
	v_mul_f64 v[50:51], v[98:99], s[58:59]
	v_add_f64 v[40:41], v[40:41], v[64:65]
	v_add_f64 v[42:43], v[42:43], v[70:71]
	v_fma_f64 v[64:65], v[24:25], s[12:13], v[88:89]
	v_fma_f64 v[70:71], v[30:31], s[12:13], -v[90:91]
	v_mul_f64 v[88:89], v[96:97], s[52:53]
	v_mul_f64 v[90:91], v[98:99], s[52:53]
	v_fma_f64 v[112:113], v[24:25], s[18:19], -v[48:49]
	v_fma_f64 v[114:115], v[30:31], s[18:19], v[50:51]
	v_fma_f64 v[48:49], v[24:25], s[18:19], v[48:49]
	v_fma_f64 v[50:51], v[30:31], s[18:19], -v[50:51]
	v_add_f64 v[64:65], v[64:65], v[76:77]
	v_add_f64 v[70:71], v[70:71], v[78:79]
	v_fma_f64 v[76:77], v[24:25], s[56:57], -v[88:89]
	v_fma_f64 v[78:79], v[30:31], s[56:57], v[90:91]
	v_add_f64 v[104:105], v[112:113], v[104:105]
	v_add_f64 v[106:107], v[114:115], v[106:107]
	;; [unrolled: 1-line block ×4, first 2 shown]
	v_mul_f64 v[52:53], v[96:97], s[44:45]
	v_mul_f64 v[54:55], v[98:99], s[44:45]
	v_add_f64 v[76:77], v[76:77], v[84:85]
	v_add_f64 v[78:79], v[78:79], v[86:87]
	v_mul_f64 v[84:85], v[96:97], s[48:49]
	v_mul_f64 v[86:87], v[98:99], s[48:49]
	v_fma_f64 v[88:89], v[24:25], s[56:57], v[88:89]
	v_fma_f64 v[90:91], v[30:31], s[56:57], -v[90:91]
	v_fma_f64 v[112:113], v[24:25], s[6:7], -v[52:53]
	v_fma_f64 v[114:115], v[30:31], s[6:7], v[54:55]
	v_fma_f64 v[52:53], v[24:25], s[6:7], v[52:53]
	v_fma_f64 v[54:55], v[30:31], s[6:7], -v[54:55]
	v_fma_f64 v[116:117], v[24:25], s[22:23], -v[84:85]
	v_fma_f64 v[118:119], v[30:31], s[22:23], v[86:87]
	v_mul_f64 v[96:97], v[96:97], s[30:31]
	v_mul_f64 v[98:99], v[98:99], s[30:31]
	v_add_f64 v[88:89], v[88:89], v[92:93]
	v_add_f64 v[90:91], v[90:91], v[94:95]
	;; [unrolled: 1-line block ×6, first 2 shown]
	v_add_f64 v[60:61], v[14:15], -v[18:19]
	v_add_f64 v[62:63], v[12:13], -v[16:17]
	v_add_f64 v[92:93], v[112:113], v[100:101]
	v_add_f64 v[94:95], v[114:115], v[102:103]
	v_fma_f64 v[84:85], v[24:25], s[22:23], v[84:85]
	v_fma_f64 v[86:87], v[30:31], s[22:23], -v[86:87]
	v_add_f64 v[12:13], v[12:13], v[16:17]
	v_add_f64 v[14:15], v[14:15], v[18:19]
	v_mul_f64 v[16:17], v[60:61], s[30:31]
	v_mul_f64 v[18:19], v[62:63], s[30:31]
	v_fma_f64 v[100:101], v[24:25], s[28:29], -v[96:97]
	v_fma_f64 v[102:103], v[30:31], s[28:29], v[98:99]
	v_fma_f64 v[24:25], v[24:25], s[28:29], v[96:97]
	v_fma_f64 v[30:31], v[30:31], s[28:29], -v[98:99]
	v_add_f64 v[66:67], v[84:85], v[66:67]
	v_add_f64 v[68:69], v[86:87], v[68:69]
	v_fma_f64 v[84:85], v[12:13], s[28:29], -v[16:17]
	v_fma_f64 v[86:87], v[14:15], s[28:29], v[18:19]
	v_add_f64 v[96:97], v[100:101], v[108:109]
	v_add_f64 v[98:99], v[102:103], v[110:111]
	;; [unrolled: 1-line block ×4, first 2 shown]
	v_mul_f64 v[36:37], v[60:61], s[60:61]
	v_mul_f64 v[38:39], v[62:63], s[60:61]
	v_add_f64 v[72:73], v[84:85], v[72:73]
	v_add_f64 v[74:75], v[86:87], v[74:75]
	v_fma_f64 v[16:17], v[12:13], s[28:29], v[16:17]
	v_fma_f64 v[18:19], v[14:15], s[28:29], -v[18:19]
	v_mul_f64 v[84:85], v[60:61], s[48:49]
	v_mul_f64 v[86:87], v[62:63], s[48:49]
	v_fma_f64 v[100:101], v[12:13], s[20:21], -v[36:37]
	v_fma_f64 v[102:103], v[14:15], s[20:21], v[38:39]
	v_fma_f64 v[36:37], v[12:13], s[20:21], v[36:37]
	v_fma_f64 v[38:39], v[14:15], s[20:21], -v[38:39]
	v_add_f64 v[16:17], v[16:17], v[32:33]
	v_add_f64 v[18:19], v[18:19], v[34:35]
	v_fma_f64 v[32:33], v[12:13], s[22:23], -v[84:85]
	v_fma_f64 v[34:35], v[14:15], s[22:23], v[86:87]
	v_add_f64 v[80:81], v[100:101], v[80:81]
	v_add_f64 v[82:83], v[102:103], v[82:83]
	;; [unrolled: 1-line block ×4, first 2 shown]
	v_mul_f64 v[36:37], v[60:61], s[36:37]
	v_mul_f64 v[38:39], v[62:63], s[36:37]
	v_add_f64 v[32:33], v[32:33], v[40:41]
	v_add_f64 v[34:35], v[34:35], v[42:43]
	v_fma_f64 v[40:41], v[12:13], s[22:23], v[84:85]
	v_fma_f64 v[42:43], v[14:15], s[22:23], -v[86:87]
	v_mul_f64 v[84:85], v[60:61], s[44:45]
	v_mul_f64 v[86:87], v[62:63], s[44:45]
	v_fma_f64 v[100:101], v[12:13], s[34:35], -v[36:37]
	v_fma_f64 v[102:103], v[14:15], s[34:35], v[38:39]
	v_fma_f64 v[36:37], v[12:13], s[34:35], v[36:37]
	v_fma_f64 v[38:39], v[14:15], s[34:35], -v[38:39]
	v_add_f64 v[64:65], v[40:41], v[64:65]
	v_add_f64 v[108:109], v[42:43], v[70:71]
	v_fma_f64 v[40:41], v[12:13], s[6:7], -v[84:85]
	v_fma_f64 v[42:43], v[14:15], s[6:7], v[86:87]
	v_add_f64 v[100:101], v[100:101], v[104:105]
	v_fma_f64 v[70:71], v[12:13], s[6:7], v[84:85]
	v_add_f64 v[48:49], v[36:37], v[48:49]
	v_add_f64 v[50:51], v[38:39], v[50:51]
	v_mul_f64 v[36:37], v[60:61], s[50:51]
	v_mul_f64 v[38:39], v[62:63], s[50:51]
	v_add_f64 v[76:77], v[40:41], v[76:77]
	v_add_f64 v[78:79], v[42:43], v[78:79]
	v_mul_f64 v[40:41], v[60:61], s[52:53]
	v_mul_f64 v[42:43], v[62:63], s[52:53]
	v_fma_f64 v[84:85], v[14:15], s[6:7], -v[86:87]
	v_add_f64 v[102:103], v[102:103], v[106:107]
	v_fma_f64 v[86:87], v[12:13], s[12:13], -v[36:37]
	v_fma_f64 v[104:105], v[14:15], s[12:13], v[38:39]
	v_fma_f64 v[38:39], v[14:15], s[12:13], -v[38:39]
	v_fma_f64 v[36:37], v[12:13], s[12:13], v[36:37]
	;; [unrolled: 2-line block ×3, first 2 shown]
	v_add_f64 v[84:85], v[84:85], v[90:91]
	v_add_f64 v[112:113], v[6:7], v[10:11]
	;; [unrolled: 1-line block ×5, first 2 shown]
	v_mul_f64 v[38:39], v[62:63], s[38:39]
	v_add_f64 v[94:95], v[106:107], v[56:57]
	v_add_f64 v[104:105], v[110:111], v[58:59]
	v_add_f64 v[106:107], v[6:7], -v[10:11]
	v_add_f64 v[110:111], v[4:5], -v[8:9]
	v_add_f64 v[52:53], v[36:37], v[52:53]
	v_mul_f64 v[36:37], v[60:61], s[38:39]
	v_fma_f64 v[42:43], v[14:15], s[56:57], -v[42:43]
	v_fma_f64 v[10:11], v[14:15], s[18:19], v[38:39]
	v_fma_f64 v[14:15], v[14:15], s[18:19], -v[38:39]
	v_fma_f64 v[40:41], v[12:13], s[56:57], v[40:41]
	v_add_f64 v[60:61], v[4:5], v[8:9]
	v_mul_f64 v[6:7], v[110:111], s[36:37]
	v_mul_f64 v[4:5], v[106:107], s[36:37]
	v_fma_f64 v[8:9], v[12:13], s[18:19], -v[36:37]
	v_fma_f64 v[12:13], v[12:13], s[18:19], v[36:37]
	v_add_f64 v[98:99], v[10:11], v[98:99]
	v_mul_f64 v[10:11], v[110:111], s[38:39]
	v_add_f64 v[129:130], v[14:15], v[30:31]
	v_mul_f64 v[14:15], v[110:111], s[54:55]
	v_fma_f64 v[38:39], v[112:113], s[34:35], v[6:7]
	v_fma_f64 v[6:7], v[112:113], s[34:35], -v[6:7]
	v_fma_f64 v[36:37], v[60:61], s[34:35], -v[4:5]
	v_add_f64 v[96:97], v[8:9], v[96:97]
	v_add_f64 v[118:119], v[12:13], v[24:25]
	v_fma_f64 v[30:31], v[112:113], s[18:19], v[10:11]
	v_fma_f64 v[10:11], v[112:113], s[18:19], -v[10:11]
	v_mul_f64 v[8:9], v[106:107], s[38:39]
	v_fma_f64 v[4:5], v[60:61], s[34:35], v[4:5]
	v_mul_f64 v[12:13], v[106:107], s[54:55]
	v_add_f64 v[114:115], v[40:41], v[66:67]
	v_add_f64 v[116:117], v[42:43], v[68:69]
	;; [unrolled: 1-line block ×3, first 2 shown]
	v_fma_f64 v[6:7], v[112:113], s[6:7], v[14:15]
	v_add_f64 v[40:41], v[10:11], v[46:47]
	v_mul_f64 v[10:11], v[110:111], s[64:65]
	v_fma_f64 v[24:25], v[60:61], s[18:19], -v[8:9]
	v_add_f64 v[58:59], v[4:5], v[16:17]
	v_fma_f64 v[4:5], v[60:61], s[6:7], -v[12:13]
	v_add_f64 v[72:73], v[36:37], v[72:73]
	v_add_f64 v[36:37], v[30:31], v[82:83]
	v_add_f64 v[68:69], v[6:7], v[34:35]
	v_fma_f64 v[6:7], v[112:113], s[6:7], -v[14:15]
	v_mul_f64 v[30:31], v[110:111], s[48:49]
	v_fma_f64 v[14:15], v[112:113], s[28:29], v[10:11]
	v_fma_f64 v[10:11], v[112:113], s[28:29], -v[10:11]
	v_fma_f64 v[8:9], v[60:61], s[18:19], v[8:9]
	v_add_f64 v[62:63], v[24:25], v[80:81]
	v_add_f64 v[66:67], v[4:5], v[32:33]
	v_fma_f64 v[4:5], v[60:61], s[6:7], v[12:13]
	v_mul_f64 v[24:25], v[106:107], s[48:49]
	v_add_f64 v[16:17], v[6:7], v[108:109]
	v_fma_f64 v[6:7], v[112:113], s[22:23], v[30:31]
	v_add_f64 v[18:19], v[14:15], v[102:103]
	v_add_f64 v[14:15], v[10:11], v[50:51]
	v_mul_f64 v[10:11], v[110:111], s[52:53]
	v_add_f64 v[131:132], v[38:39], v[74:75]
	v_add_f64 v[38:39], v[8:9], v[44:45]
	v_mul_f64 v[8:9], v[106:107], s[64:65]
	v_add_f64 v[88:89], v[70:71], v[88:89]
	v_add_f64 v[70:71], v[4:5], v[64:65]
	v_fma_f64 v[4:5], v[60:61], s[22:23], -v[24:25]
	v_mul_f64 v[32:33], v[106:107], s[40:41]
	v_add_f64 v[74:75], v[6:7], v[78:79]
	v_fma_f64 v[6:7], v[112:113], s[22:23], -v[30:31]
	v_fma_f64 v[44:45], v[112:113], s[56:57], -v[10:11]
	;; [unrolled: 1-line block ×3, first 2 shown]
	v_fma_f64 v[8:9], v[60:61], s[28:29], v[8:9]
	v_fma_f64 v[30:31], v[112:113], s[56:57], v[10:11]
	v_add_f64 v[56:57], v[4:5], v[76:77]
	v_fma_f64 v[4:5], v[60:61], s[22:23], v[24:25]
	v_fma_f64 v[46:47], v[60:61], s[12:13], -v[32:33]
	v_mul_f64 v[34:35], v[110:111], s[40:41]
	v_add_f64 v[78:79], v[6:7], v[84:85]
	v_add_f64 v[6:7], v[44:45], v[92:93]
	v_mul_f64 v[44:45], v[106:107], s[26:27]
	v_mul_f64 v[50:51], v[110:111], s[26:27]
	v_add_f64 v[54:55], v[12:13], v[100:101]
	v_add_f64 v[12:13], v[8:9], v[48:49]
	v_mul_f64 v[8:9], v[106:107], s[52:53]
	v_add_f64 v[10:11], v[30:31], v[90:91]
	v_add_f64 v[30:31], v[20:21], -v[22:23]
	v_add_f64 v[76:77], v[4:5], v[88:89]
	v_add_f64 v[4:5], v[46:47], v[94:95]
	v_add_f64 v[46:47], v[26:27], -v[28:29]
	v_fma_f64 v[48:49], v[112:113], s[12:13], v[34:35]
	v_add_f64 v[22:23], v[20:21], v[22:23]
	v_add_f64 v[20:21], v[26:27], v[28:29]
	v_fma_f64 v[26:27], v[112:113], s[12:13], -v[34:35]
	v_fma_f64 v[28:29], v[60:61], s[20:21], -v[44:45]
	v_fma_f64 v[34:35], v[60:61], s[20:21], v[44:45]
	v_fma_f64 v[44:45], v[112:113], s[20:21], -v[50:51]
	v_fma_f64 v[24:25], v[60:61], s[56:57], -v[8:9]
	v_mul_f64 v[84:85], v[30:31], s[52:53]
	v_fma_f64 v[8:9], v[60:61], s[56:57], v[8:9]
	v_fma_f64 v[32:33], v[60:61], s[12:13], v[32:33]
	v_mul_f64 v[82:83], v[46:47], s[52:53]
	v_mul_lo_u32 v88, v127, v128
	v_add_u32_e32 v90, 17, v128
	v_add_f64 v[44:45], v[44:45], v[129:130]
	v_mov_b32_e32 v129, 4
	v_mul_lo_u32 v90, v127, v90
	v_add_f64 v[80:81], v[24:25], v[86:87]
	v_fma_f64 v[86:87], v[20:21], s[56:57], v[84:85]
	v_lshlrev_b32_sdwa v89, v129, v88 dst_sel:DWORD dst_unused:UNUSED_PAD src0_sel:DWORD src1_sel:BYTE_0
	v_bfe_u32 v88, v88, 8, 8
	v_mov_b32_e32 v130, 0x1000
	v_add_f64 v[8:9], v[8:9], v[52:53]
	v_add_f64 v[24:25], v[48:49], v[104:105]
	;; [unrolled: 1-line block ×3, first 2 shown]
	v_fma_f64 v[32:33], v[112:113], s[20:21], v[50:51]
	v_add_f64 v[52:53], v[26:27], v[116:117]
	v_lshl_or_b32 v88, v88, 4, v130
	global_load_dwordx4 v[110:113], v89, s[16:17]
	global_load_dwordx4 v[114:117], v88, s[16:17]
	v_fma_f64 v[60:61], v[22:23], s[56:57], -v[82:83]
	v_lshlrev_b32_sdwa v88, v129, v90 dst_sel:DWORD dst_unused:UNUSED_PAD src0_sel:DWORD src1_sel:BYTE_0
	v_bfe_u32 v89, v90, 8, 8
	v_add_u32_e32 v90, 34, v128
	v_mul_lo_u32 v90, v127, v90
	v_lshl_or_b32 v89, v89, 4, v130
	v_add_f64 v[50:51], v[28:29], v[96:97]
	v_add_f64 v[28:29], v[86:87], v[131:132]
	global_load_dwordx4 v[131:134], v88, s[16:17]
	global_load_dwordx4 v[135:138], v89, s[16:17]
	v_lshlrev_b32_sdwa v88, v129, v90 dst_sel:DWORD dst_unused:UNUSED_PAD src0_sel:DWORD src1_sel:BYTE_0
	v_bfe_u32 v89, v90, 8, 8
	v_lshl_or_b32 v89, v89, 4, v130
	global_load_dwordx4 v[139:142], v88, s[16:17]
	global_load_dwordx4 v[143:146], v89, s[16:17]
	v_mul_f64 v[64:65], v[46:47], s[42:43]
	v_add_f64 v[26:27], v[60:61], v[72:73]
	v_fma_f64 v[72:73], v[20:21], s[56:57], -v[84:85]
	v_mul_f64 v[84:85], v[30:31], s[42:43]
	v_fma_f64 v[60:61], v[22:23], s[56:57], v[82:83]
	v_mul_f64 v[86:87], v[46:47], s[36:37]
	v_add_f64 v[34:35], v[34:35], v[118:119]
	v_mul_f64 v[88:89], v[30:31], s[36:37]
	v_fma_f64 v[82:83], v[22:23], s[22:23], -v[64:65]
	v_fma_f64 v[64:65], v[22:23], s[22:23], v[64:65]
	v_mul_f64 v[94:95], v[46:47], s[40:41]
	v_fma_f64 v[90:91], v[20:21], s[22:23], v[84:85]
	v_fma_f64 v[84:85], v[20:21], s[22:23], -v[84:85]
	v_add_f64 v[60:61], v[60:61], v[58:59]
	v_add_f64 v[58:59], v[72:73], v[42:43]
	v_fma_f64 v[42:43], v[22:23], s[34:35], -v[86:87]
	v_add_f64 v[118:119], v[82:83], v[62:63]
	v_add_f64 v[62:63], v[64:65], v[38:39]
	v_fma_f64 v[92:93], v[22:23], s[34:35], v[86:87]
	v_add_f64 v[82:83], v[90:91], v[36:37]
	v_add_u32_e32 v36, 51, v128
	v_mul_lo_u32 v36, v127, v36
	v_add_f64 v[64:65], v[84:85], v[40:41]
	v_add_f64 v[86:87], v[42:43], v[66:67]
	v_fma_f64 v[72:73], v[20:21], s[34:35], v[88:89]
	v_lshlrev_b32_sdwa v37, v129, v36 dst_sel:DWORD dst_unused:UNUSED_PAD src0_sel:DWORD src1_sel:BYTE_0
	v_bfe_u32 v36, v36, 8, 8
	v_lshl_or_b32 v40, v36, 4, v130
	global_load_dwordx4 v[36:39], v37, s[16:17]
	s_nop 0
	global_load_dwordx4 v[40:43], v40, s[16:17]
	v_mul_f64 v[96:97], v[30:31], s[40:41]
	v_add_f64 v[32:33], v[32:33], v[98:99]
	v_add_f64 v[66:67], v[92:93], v[70:71]
	;; [unrolled: 1-line block ×3, first 2 shown]
	v_fma_f64 v[68:69], v[20:21], s[34:35], -v[88:89]
	v_fma_f64 v[70:71], v[22:23], s[12:13], -v[94:95]
	v_mul_f64 v[92:93], v[46:47], s[30:31]
	v_mul_f64 v[98:99], v[30:31], s[30:31]
	v_fma_f64 v[72:73], v[20:21], s[12:13], v[96:97]
	v_mul_f64 v[104:105], v[30:31], s[38:39]
	v_add_u32_e32 v149, 0xcc, v128
	v_mul_lo_u32 v155, v127, v149
	v_add_f64 v[68:69], v[68:69], v[16:17]
	v_add_f64 v[90:91], v[70:71], v[54:55]
	v_mul_f64 v[16:17], v[46:47], s[38:39]
	v_fma_f64 v[54:55], v[20:21], s[12:13], -v[96:97]
	v_add_f64 v[88:89], v[72:73], v[18:19]
	v_fma_f64 v[18:19], v[22:23], s[12:13], v[94:95]
	v_fma_f64 v[94:95], v[22:23], s[28:29], -v[92:93]
	v_fma_f64 v[96:97], v[20:21], s[28:29], v[98:99]
	v_fma_f64 v[98:99], v[20:21], s[28:29], -v[98:99]
	v_fma_f64 v[100:101], v[22:23], s[28:29], v[92:93]
	v_fma_f64 v[102:103], v[22:23], s[18:19], -v[16:17]
	v_add_f64 v[72:73], v[54:55], v[14:15]
	v_fma_f64 v[54:55], v[20:21], s[18:19], v[104:105]
	v_add_f64 v[70:71], v[18:19], v[12:13]
	v_add_f64 v[92:93], v[94:95], v[56:57]
	;; [unrolled: 1-line block ×4, first 2 shown]
	v_mul_f64 v[98:99], v[46:47], s[26:27]
	v_add_u32_e32 v12, 0x44, v128
	v_mul_lo_u32 v12, v127, v12
	v_fma_f64 v[56:57], v[22:23], s[18:19], v[16:17]
	v_add_f64 v[76:77], v[100:101], v[76:77]
	v_add_f64 v[78:79], v[102:103], v[80:81]
	v_mul_f64 v[100:101], v[30:31], s[26:27]
	v_lshlrev_b32_sdwa v13, v129, v12 dst_sel:DWORD dst_unused:UNUSED_PAD src0_sel:DWORD src1_sel:BYTE_0
	v_bfe_u32 v12, v12, 8, 8
	v_add_f64 v[102:103], v[54:55], v[10:11]
	v_fma_f64 v[10:11], v[22:23], s[20:21], -v[98:99]
	v_lshl_or_b32 v16, v12, 4, v130
	global_load_dwordx4 v[12:15], v13, s[16:17]
	s_nop 0
	global_load_dwordx4 v[16:19], v16, s[16:17]
	v_add_f64 v[80:81], v[56:57], v[8:9]
	v_fma_f64 v[8:9], v[22:23], s[20:21], v[98:99]
	v_fma_f64 v[96:97], v[20:21], s[18:19], -v[104:105]
	v_mul_f64 v[46:47], v[46:47], s[44:45]
	v_fma_f64 v[54:55], v[20:21], s[20:21], v[100:101]
	v_add_f64 v[106:107], v[10:11], v[4:5]
	s_waitcnt vmcnt(8)
	v_mul_f64 v[4:5], v[110:111], v[116:117]
	v_fma_f64 v[56:57], v[20:21], s[20:21], -v[100:101]
	v_mul_f64 v[30:31], v[30:31], s[44:45]
	v_add_f64 v[100:101], v[8:9], v[48:49]
	s_waitcnt vmcnt(6)
	v_mul_f64 v[8:9], v[131:132], v[137:138]
	v_add_f64 v[96:97], v[96:97], v[6:7]
	v_fma_f64 v[6:7], v[22:23], s[6:7], -v[46:47]
	v_add_f64 v[104:105], v[54:55], v[24:25]
	s_waitcnt vmcnt(4)
	v_mul_f64 v[10:11], v[139:140], v[145:146]
	v_mul_f64 v[24:25], v[112:113], v[116:117]
	v_fma_f64 v[4:5], v[112:113], v[114:115], v[4:5]
	v_fma_f64 v[22:23], v[22:23], s[6:7], v[46:47]
	v_mul_f64 v[46:47], v[133:134], v[137:138]
	v_fma_f64 v[8:9], v[133:134], v[135:136], v[8:9]
	v_add_f64 v[108:109], v[6:7], v[50:51]
	v_fma_f64 v[6:7], v[20:21], s[6:7], v[30:31]
	v_fma_f64 v[20:21], v[20:21], s[6:7], -v[30:31]
	v_mul_f64 v[30:31], v[141:142], v[145:146]
	v_fma_f64 v[48:49], v[141:142], v[143:144], v[10:11]
	v_fma_f64 v[10:11], v[110:111], v[114:115], -v[24:25]
	v_mul_f64 v[24:25], v[2:3], v[4:5]
	v_mul_f64 v[4:5], v[0:1], v[4:5]
	v_add_f64 v[98:99], v[56:57], v[52:53]
	v_fma_f64 v[46:47], v[131:132], v[135:136], -v[46:47]
	v_mul_f64 v[50:51], v[8:9], v[28:29]
	v_mul_f64 v[52:53], v[8:9], v[26:27]
	v_fma_f64 v[116:117], v[139:140], v[143:144], -v[30:31]
	v_mul_f64 v[30:31], v[82:83], v[48:49]
	v_fma_f64 v[8:9], v[0:1], v[10:11], -v[24:25]
	v_fma_f64 v[10:11], v[2:3], v[10:11], v[4:5]
	v_add_u32_e32 v2, 0x55, v128
	v_add_f64 v[110:111], v[20:21], v[44:45]
	v_mul_lo_u32 v20, v127, v2
	v_add_f64 v[112:113], v[22:23], v[34:35]
	v_add_u32_e32 v22, 0x66, v128
	v_add_f64 v[114:115], v[6:7], v[32:33]
	v_lshlrev_b32_sdwa v21, v129, v20 dst_sel:DWORD dst_unused:UNUSED_PAD src0_sel:DWORD src1_sel:BYTE_0
	v_bfe_u32 v20, v20, 8, 8
	v_lshl_or_b32 v24, v20, 4, v130
	v_fma_f64 v[4:5], v[46:47], v[26:27], -v[50:51]
	v_fma_f64 v[6:7], v[46:47], v[28:29], v[52:53]
	v_mul_lo_u32 v28, v127, v22
	global_load_dwordx4 v[20:23], v21, s[16:17]
	s_nop 0
	global_load_dwordx4 v[24:27], v24, s[16:17]
	v_fma_f64 v[0:1], v[118:119], v[116:117], -v[30:31]
	v_mul_f64 v[2:3], v[118:119], v[48:49]
	s_waitcnt vmcnt(4)
	v_mul_f64 v[118:119], v[38:39], v[42:43]
	v_mul_f64 v[42:43], v[36:37], v[42:43]
	v_lshlrev_b32_sdwa v44, v129, v28 dst_sel:DWORD dst_unused:UNUSED_PAD src0_sel:DWORD src1_sel:BYTE_0
	v_bfe_u32 v28, v28, 8, 8
	v_lshl_or_b32 v45, v28, 4, v130
	v_add_u32_e32 v28, 0x77, v128
	v_mul_lo_u32 v46, v127, v28
	global_load_dwordx4 v[28:31], v44, s[16:17]
	global_load_dwordx4 v[32:35], v45, s[16:17]
	v_add_u32_e32 v131, 0x99, v128
	v_fma_f64 v[38:39], v[38:39], v[40:41], v[42:43]
	v_add_u32_e32 v43, 0x88, v128
	v_mul_lo_u32 v51, v127, v43
	v_lshlrev_b32_sdwa v50, v129, v46 dst_sel:DWORD dst_unused:UNUSED_PAD src0_sel:DWORD src1_sel:BYTE_0
	v_bfe_u32 v42, v46, 8, 8
	v_lshl_or_b32 v52, v42, 4, v130
	global_load_dwordx4 v[42:45], v50, s[16:17]
	global_load_dwordx4 v[46:49], v52, s[16:17]
	v_lshlrev_b32_sdwa v50, v129, v51 dst_sel:DWORD dst_unused:UNUSED_PAD src0_sel:DWORD src1_sel:BYTE_0
	v_bfe_u32 v51, v51, 8, 8
	v_lshl_or_b32 v54, v51, 4, v130
	global_load_dwordx4 v[50:53], v50, s[16:17]
	s_nop 0
	global_load_dwordx4 v[54:57], v54, s[16:17]
	v_mul_lo_u32 v131, v127, v131
	v_add_u32_e32 v133, 0xaa, v128
	v_mul_lo_u32 v139, v127, v133
	v_add_u32_e32 v141, 0xbb, v128
	v_lshlrev_b32_sdwa v132, v129, v131 dst_sel:DWORD dst_unused:UNUSED_PAD src0_sel:DWORD src1_sel:BYTE_0
	v_bfe_u32 v131, v131, 8, 8
	v_lshl_or_b32 v135, v131, 4, v130
	global_load_dwordx4 v[131:134], v132, s[16:17]
	s_nop 0
	global_load_dwordx4 v[135:138], v135, s[16:17]
	v_lshlrev_b32_sdwa v140, v129, v139 dst_sel:DWORD dst_unused:UNUSED_PAD src0_sel:DWORD src1_sel:BYTE_0
	v_bfe_u32 v139, v139, 8, 8
	v_lshl_or_b32 v143, v139, 4, v130
	v_mul_lo_u32 v147, v127, v141
	global_load_dwordx4 v[139:142], v140, s[16:17]
	s_nop 0
	global_load_dwordx4 v[143:146], v143, s[16:17]
	v_lshlrev_b32_sdwa v156, v129, v155 dst_sel:DWORD dst_unused:UNUSED_PAD src0_sel:DWORD src1_sel:BYTE_0
	v_bfe_u32 v155, v155, 8, 8
	v_lshlrev_b32_sdwa v148, v129, v147 dst_sel:DWORD dst_unused:UNUSED_PAD src0_sel:DWORD src1_sel:BYTE_0
	v_bfe_u32 v147, v147, 8, 8
	v_lshl_or_b32 v151, v147, 4, v130
	v_lshl_or_b32 v159, v155, 4, v130
	v_add_u32_e32 v155, 0xdd, v128
	global_load_dwordx4 v[147:150], v148, s[16:17]
	s_nop 0
	global_load_dwordx4 v[151:154], v151, s[16:17]
	v_mul_lo_u32 v163, v127, v155
	global_load_dwordx4 v[155:158], v156, s[16:17]
	s_nop 0
	global_load_dwordx4 v[159:162], v159, s[16:17]
	v_fma_f64 v[36:37], v[36:37], v[40:41], -v[118:119]
	s_waitcnt vmcnt(16)
	v_mul_f64 v[118:119], v[12:13], v[18:19]
	v_mul_f64 v[18:19], v[14:15], v[18:19]
	;; [unrolled: 1-line block ×4, first 2 shown]
	v_fma_f64 v[2:3], v[82:83], v[116:117], v[2:3]
	v_fma_f64 v[14:15], v[14:15], v[16:17], v[118:119]
	v_lshlrev_b32_sdwa v118, v129, v163 dst_sel:DWORD dst_unused:UNUSED_PAD src0_sel:DWORD src1_sel:BYTE_0
	v_bfe_u32 v119, v163, 8, 8
	v_add_u32_e32 v163, 0xee, v128
	v_mul_lo_u32 v171, v127, v163
	v_lshl_or_b32 v119, v119, 4, v130
	global_load_dwordx4 v[163:166], v118, s[16:17]
	global_load_dwordx4 v[167:170], v119, s[16:17]
	v_fma_f64 v[191:192], v[12:13], v[16:17], -v[18:19]
	v_lshlrev_b32_sdwa v118, v129, v171 dst_sel:DWORD dst_unused:UNUSED_PAD src0_sel:DWORD src1_sel:BYTE_0
	v_bfe_u32 v119, v171, 8, 8
	v_add_u32_e32 v171, 0xff, v128
	v_mul_lo_u32 v179, v127, v171
	v_add_u32_e32 v128, 0x110, v128
	v_mul_lo_u32 v127, v127, v128
	v_lshl_or_b32 v119, v119, 4, v130
	global_load_dwordx4 v[171:174], v118, s[16:17]
	global_load_dwordx4 v[175:178], v119, s[16:17]
	v_bfe_u32 v119, v179, 8, 8
	v_lshlrev_b32_sdwa v118, v129, v179 dst_sel:DWORD dst_unused:UNUSED_PAD src0_sel:DWORD src1_sel:BYTE_0
	v_lshl_or_b32 v119, v119, 4, v130
	global_load_dwordx4 v[179:182], v118, s[16:17]
	global_load_dwordx4 v[183:186], v119, s[16:17]
	v_lshlrev_b32_sdwa v118, v129, v127 dst_sel:DWORD dst_unused:UNUSED_PAD src0_sel:DWORD src1_sel:BYTE_0
	v_bfe_u32 v119, v127, 8, 8
	v_lshl_or_b32 v119, v119, 4, v130
	global_load_dwordx4 v[127:130], v118, s[16:17]
	global_load_dwordx4 v[187:190], v119, s[16:17]
	v_fma_f64 v[16:17], v[86:87], v[36:37], -v[40:41]
	s_waitcnt vmcnt(22)
	v_mul_f64 v[118:119], v[20:21], v[26:27]
	v_mul_f64 v[26:27], v[22:23], v[26:27]
	v_fma_f64 v[18:19], v[84:85], v[36:37], v[38:39]
	v_mul_f64 v[12:13], v[88:89], v[14:15]
	v_mul_f64 v[14:15], v[90:91], v[14:15]
	s_waitcnt vmcnt(0)
	s_barrier
	v_fma_f64 v[22:23], v[22:23], v[24:25], v[118:119]
	v_fma_f64 v[20:21], v[20:21], v[24:25], -v[26:27]
	v_mul_f64 v[82:83], v[28:29], v[34:35]
	v_mul_f64 v[34:35], v[30:31], v[34:35]
	v_fma_f64 v[12:13], v[90:91], v[191:192], -v[12:13]
	v_fma_f64 v[14:15], v[88:89], v[191:192], v[14:15]
	v_mul_f64 v[26:27], v[94:95], v[22:23]
	v_mul_f64 v[22:23], v[92:93], v[22:23]
	v_fma_f64 v[30:31], v[30:31], v[32:33], v[82:83]
	v_mul_f64 v[24:25], v[42:43], v[48:49]
	v_fma_f64 v[28:29], v[28:29], v[32:33], -v[34:35]
	v_mul_f64 v[34:35], v[44:45], v[48:49]
	v_mul_f64 v[36:37], v[50:51], v[56:57]
	;; [unrolled: 1-line block ×3, first 2 shown]
	v_fma_f64 v[38:39], v[44:45], v[46:47], v[24:25]
	v_fma_f64 v[24:25], v[92:93], v[20:21], -v[26:27]
	v_fma_f64 v[26:27], v[94:95], v[20:21], v[22:23]
	v_mul_f64 v[22:23], v[52:53], v[56:57]
	v_fma_f64 v[36:37], v[52:53], v[54:55], v[36:37]
	v_mul_f64 v[30:31], v[78:79], v[30:31]
	v_mul_f64 v[40:41], v[131:132], v[137:138]
	v_fma_f64 v[20:21], v[78:79], v[28:29], -v[32:33]
	v_fma_f64 v[34:35], v[42:43], v[46:47], -v[34:35]
	v_mul_f64 v[32:33], v[104:105], v[38:39]
	v_mul_f64 v[38:39], v[106:107], v[38:39]
	v_fma_f64 v[42:43], v[50:51], v[54:55], -v[22:23]
	v_mul_f64 v[44:45], v[114:115], v[36:37]
	v_fma_f64 v[22:23], v[102:103], v[28:29], v[30:31]
	v_mul_f64 v[30:31], v[139:140], v[145:146]
	v_mul_f64 v[46:47], v[133:134], v[137:138]
	v_fma_f64 v[40:41], v[133:134], v[135:136], v[40:41]
	v_mul_f64 v[36:37], v[108:109], v[36:37]
	v_fma_f64 v[32:33], v[106:107], v[34:35], -v[32:33]
	v_fma_f64 v[34:35], v[104:105], v[34:35], v[38:39]
	v_fma_f64 v[28:29], v[108:109], v[42:43], -v[44:45]
	v_mul_f64 v[38:39], v[141:142], v[145:146]
	v_fma_f64 v[44:45], v[141:142], v[143:144], v[30:31]
	v_fma_f64 v[46:47], v[131:132], v[135:136], -v[46:47]
	v_mul_f64 v[48:49], v[147:148], v[153:154]
	v_mul_f64 v[50:51], v[110:111], v[40:41]
	v_fma_f64 v[30:31], v[114:115], v[42:43], v[36:37]
	v_mul_f64 v[36:37], v[112:113], v[40:41]
	v_mul_f64 v[52:53], v[155:156], v[161:162]
	v_fma_f64 v[38:39], v[139:140], v[143:144], -v[38:39]
	v_mul_f64 v[54:55], v[98:99], v[44:45]
	v_mul_f64 v[56:57], v[149:150], v[153:154]
	v_fma_f64 v[48:49], v[149:150], v[151:152], v[48:49]
	v_fma_f64 v[40:41], v[112:113], v[46:47], -v[50:51]
	v_mul_f64 v[50:51], v[157:158], v[161:162]
	v_fma_f64 v[42:43], v[110:111], v[46:47], v[36:37]
	v_fma_f64 v[46:47], v[157:158], v[159:160], v[52:53]
	v_mul_f64 v[44:45], v[100:101], v[44:45]
	v_fma_f64 v[36:37], v[100:101], v[38:39], -v[54:55]
	v_fma_f64 v[52:53], v[147:148], v[151:152], -v[56:57]
	v_mul_f64 v[54:55], v[96:97], v[48:49]
	v_mul_f64 v[56:57], v[80:81], v[48:49]
	v_fma_f64 v[78:79], v[155:156], v[159:160], -v[50:51]
	v_mul_f64 v[82:83], v[163:164], v[169:170]
	v_mul_f64 v[84:85], v[74:75], v[46:47]
	;; [unrolled: 1-line block ×3, first 2 shown]
	v_fma_f64 v[38:39], v[98:99], v[38:39], v[44:45]
	v_mul_f64 v[86:87], v[165:166], v[169:170]
	v_fma_f64 v[48:49], v[80:81], v[52:53], -v[54:55]
	v_mul_f64 v[54:55], v[171:172], v[177:178]
	v_fma_f64 v[50:51], v[96:97], v[52:53], v[56:57]
	v_fma_f64 v[56:57], v[165:166], v[167:168], v[82:83]
	v_fma_f64 v[44:45], v[76:77], v[78:79], -v[84:85]
	v_mul_f64 v[76:77], v[179:180], v[185:186]
	v_fma_f64 v[46:47], v[74:75], v[78:79], v[46:47]
	v_mul_f64 v[74:75], v[127:128], v[189:190]
	v_fma_f64 v[52:53], v[163:164], v[167:168], -v[86:87]
	v_mul_f64 v[78:79], v[173:174], v[177:178]
	v_fma_f64 v[82:83], v[173:174], v[175:176], v[54:55]
	v_mul_f64 v[84:85], v[181:182], v[185:186]
	v_mul_f64 v[90:91], v[129:130], v[189:190]
	v_fma_f64 v[86:87], v[181:182], v[183:184], v[76:77]
	v_mul_f64 v[54:55], v[72:73], v[56:57]
	v_fma_f64 v[88:89], v[129:130], v[187:188], v[74:75]
	v_mul_f64 v[56:57], v[70:71], v[56:57]
	v_fma_f64 v[76:77], v[171:172], v[175:176], -v[78:79]
	v_mul_f64 v[80:81], v[68:69], v[82:83]
	v_mul_f64 v[82:83], v[66:67], v[82:83]
	v_fma_f64 v[78:79], v[179:180], v[183:184], -v[84:85]
	v_mul_f64 v[84:85], v[64:65], v[86:87]
	v_mul_f64 v[86:87], v[62:63], v[86:87]
	v_fma_f64 v[74:75], v[127:128], v[187:188], -v[90:91]
	v_mul_f64 v[90:91], v[58:59], v[88:89]
	v_mul_f64 v[88:89], v[60:61], v[88:89]
	v_fma_f64 v[54:55], v[70:71], v[52:53], -v[54:55]
	v_fma_f64 v[56:57], v[72:73], v[52:53], v[56:57]
	v_fma_f64 v[66:67], v[66:67], v[76:77], -v[80:81]
	v_fma_f64 v[68:69], v[68:69], v[76:77], v[82:83]
	;; [unrolled: 2-line block ×4, first 2 shown]
	ds_write_b128 v126, v[8:11]
	ds_write_b128 v126, v[4:7] offset:272
	ds_write_b128 v126, v[0:3] offset:544
	;; [unrolled: 1-line block ×16, first 2 shown]
	s_waitcnt lgkmcnt(0)
	s_barrier
	s_and_saveexec_b64 s[6:7], s[0:1]
	s_cbranch_execz .LBB0_16
; %bb.15:
	v_mad_u64_u32 v[4:5], s[6:7], s10, v124, 0
	s_mul_i32 s0, s3, s24
	s_mul_hi_u32 s1, s2, s24
	s_add_i32 s1, s1, s0
	s_mul_i32 s0, s2, s24
	v_mad_u64_u32 v[6:7], s[2:3], s8, v120, 0
	v_mov_b32_e32 v0, v5
	v_mad_u64_u32 v[0:1], s[2:3], s11, v124, v[0:1]
	v_mov_b32_e32 v1, v7
	v_mad_u64_u32 v[1:2], s[2:3], s9, v120, v[1:2]
	s_lshl_b64 s[0:1], s[0:1], 4
	s_add_u32 s2, s14, s0
	v_mov_b32_e32 v5, v0
	s_addc_u32 s3, s15, s1
	s_lshl_b64 s[0:1], s[4:5], 4
	v_mul_u32_u24_e32 v0, 0x1210, v124
	s_add_u32 s0, s2, s0
	v_lshlrev_b64 v[4:5], 4, v[4:5]
	v_add3_u32 v12, 0, v0, v125
	s_addc_u32 s1, s3, s1
	v_mov_b32_e32 v7, v1
	ds_read_b128 v[0:3], v12
	v_mov_b32_e32 v8, s1
	v_add_co_u32_e32 v13, vcc, s0, v4
	v_addc_co_u32_e32 v14, vcc, v8, v5, vcc
	v_lshlrev_b64 v[4:5], 4, v[6:7]
	v_mad_u64_u32 v[8:9], s[0:1], s8, v123, 0
	v_add_co_u32_e32 v10, vcc, v13, v4
	v_addc_co_u32_e32 v11, vcc, v14, v5, vcc
	ds_read_b128 v[4:7], v12 offset:272
	s_waitcnt lgkmcnt(1)
	global_store_dwordx4 v[10:11], v[0:3], off
	v_mad_u64_u32 v[10:11], s[0:1], s8, v122, 0
	v_mov_b32_e32 v0, v9
	v_mad_u64_u32 v[0:1], s[0:1], s9, v123, v[0:1]
	v_mov_b32_e32 v2, v11
	;; [unrolled: 2-line block ×3, first 2 shown]
	v_lshlrev_b64 v[0:1], 4, v[8:9]
	v_mov_b32_e32 v11, v2
	v_add_co_u32_e32 v0, vcc, v13, v0
	v_addc_co_u32_e32 v1, vcc, v14, v1, vcc
	s_waitcnt lgkmcnt(0)
	global_store_dwordx4 v[0:1], v[4:7], off
	ds_read_b128 v[0:3], v12 offset:544
	v_lshlrev_b64 v[4:5], 4, v[10:11]
	v_mad_u64_u32 v[8:9], s[0:1], s8, v121, 0
	v_add_co_u32_e32 v10, vcc, v13, v4
	v_addc_co_u32_e32 v11, vcc, v14, v5, vcc
	ds_read_b128 v[4:7], v12 offset:816
	s_waitcnt lgkmcnt(1)
	global_store_dwordx4 v[10:11], v[0:3], off
	v_add_u32_e32 v15, 0x55, v120
	v_mov_b32_e32 v0, v9
	v_add_u32_e32 v3, 0x44, v120
	v_mad_u64_u32 v[0:1], s[0:1], s9, v121, v[0:1]
	v_mad_u64_u32 v[10:11], s[0:1], s8, v3, 0
	v_mov_b32_e32 v9, v0
	v_lshlrev_b64 v[0:1], 4, v[8:9]
	v_mov_b32_e32 v2, v11
	v_mad_u64_u32 v[2:3], s[0:1], s9, v3, v[2:3]
	v_add_co_u32_e32 v0, vcc, v13, v0
	v_addc_co_u32_e32 v1, vcc, v14, v1, vcc
	s_waitcnt lgkmcnt(0)
	global_store_dwordx4 v[0:1], v[4:7], off
	v_mov_b32_e32 v11, v2
	ds_read_b128 v[0:3], v12 offset:1088
	v_lshlrev_b64 v[4:5], 4, v[10:11]
	v_mad_u64_u32 v[8:9], s[0:1], s8, v15, 0
	v_add_co_u32_e32 v10, vcc, v13, v4
	v_addc_co_u32_e32 v11, vcc, v14, v5, vcc
	ds_read_b128 v[4:7], v12 offset:1360
	s_waitcnt lgkmcnt(1)
	global_store_dwordx4 v[10:11], v[0:3], off
	s_nop 0
	v_mov_b32_e32 v0, v9
	v_add_u32_e32 v3, 0x66, v120
	v_mad_u64_u32 v[0:1], s[0:1], s9, v15, v[0:1]
	v_mad_u64_u32 v[10:11], s[0:1], s8, v3, 0
	v_mov_b32_e32 v9, v0
	v_lshlrev_b64 v[0:1], 4, v[8:9]
	v_mov_b32_e32 v2, v11
	v_mad_u64_u32 v[2:3], s[0:1], s9, v3, v[2:3]
	v_add_co_u32_e32 v0, vcc, v13, v0
	v_addc_co_u32_e32 v1, vcc, v14, v1, vcc
	s_waitcnt lgkmcnt(0)
	global_store_dwordx4 v[0:1], v[4:7], off
	v_mov_b32_e32 v11, v2
	ds_read_b128 v[0:3], v12 offset:1632
	v_add_u32_e32 v15, 0x77, v120
	v_lshlrev_b64 v[4:5], 4, v[10:11]
	v_mad_u64_u32 v[8:9], s[0:1], s8, v15, 0
	v_add_co_u32_e32 v10, vcc, v13, v4
	v_addc_co_u32_e32 v11, vcc, v14, v5, vcc
	ds_read_b128 v[4:7], v12 offset:1904
	s_waitcnt lgkmcnt(1)
	global_store_dwordx4 v[10:11], v[0:3], off
	s_nop 0
	v_mov_b32_e32 v0, v9
	v_add_u32_e32 v3, 0x88, v120
	v_mad_u64_u32 v[0:1], s[0:1], s9, v15, v[0:1]
	v_mad_u64_u32 v[10:11], s[0:1], s8, v3, 0
	v_mov_b32_e32 v9, v0
	v_lshlrev_b64 v[0:1], 4, v[8:9]
	v_mov_b32_e32 v2, v11
	v_mad_u64_u32 v[2:3], s[0:1], s9, v3, v[2:3]
	v_add_co_u32_e32 v0, vcc, v13, v0
	v_addc_co_u32_e32 v1, vcc, v14, v1, vcc
	s_waitcnt lgkmcnt(0)
	global_store_dwordx4 v[0:1], v[4:7], off
	v_mov_b32_e32 v11, v2
	ds_read_b128 v[0:3], v12 offset:2176
	v_add_u32_e32 v15, 0x99, v120
	;; [unrolled: 23-line block ×5, first 2 shown]
	v_lshlrev_b64 v[4:5], 4, v[10:11]
	v_mad_u64_u32 v[8:9], s[0:1], s8, v15, 0
	v_add_co_u32_e32 v10, vcc, v13, v4
	v_addc_co_u32_e32 v11, vcc, v14, v5, vcc
	ds_read_b128 v[4:7], v12 offset:4080
	s_waitcnt lgkmcnt(1)
	global_store_dwordx4 v[10:11], v[0:3], off
	s_nop 0
	v_mov_b32_e32 v0, v9
	v_add_u32_e32 v3, 0x110, v120
	v_mad_u64_u32 v[0:1], s[0:1], s9, v15, v[0:1]
	v_mad_u64_u32 v[10:11], s[0:1], s8, v3, 0
	v_mov_b32_e32 v9, v0
	v_lshlrev_b64 v[0:1], 4, v[8:9]
	v_mov_b32_e32 v2, v11
	v_mad_u64_u32 v[2:3], s[0:1], s9, v3, v[2:3]
	v_add_co_u32_e32 v0, vcc, v13, v0
	v_addc_co_u32_e32 v1, vcc, v14, v1, vcc
	s_waitcnt lgkmcnt(0)
	global_store_dwordx4 v[0:1], v[4:7], off
	v_mov_b32_e32 v11, v2
	ds_read_b128 v[0:3], v12 offset:4352
	v_lshlrev_b64 v[4:5], 4, v[10:11]
	v_add_co_u32_e32 v4, vcc, v13, v4
	v_addc_co_u32_e32 v5, vcc, v14, v5, vcc
	s_waitcnt lgkmcnt(0)
	global_store_dwordx4 v[4:5], v[0:3], off
.LBB0_16:
	s_endpgm
	.section	.rodata,"a",@progbits
	.p2align	6, 0x0
	.amdhsa_kernel fft_rtc_fwd_len289_factors_17_17_wgs_119_tpt_17_dp_op_CI_CI_sbcc_twdbase8_2step
		.amdhsa_group_segment_fixed_size 0
		.amdhsa_private_segment_fixed_size 0
		.amdhsa_kernarg_size 112
		.amdhsa_user_sgpr_count 6
		.amdhsa_user_sgpr_private_segment_buffer 1
		.amdhsa_user_sgpr_dispatch_ptr 0
		.amdhsa_user_sgpr_queue_ptr 0
		.amdhsa_user_sgpr_kernarg_segment_ptr 1
		.amdhsa_user_sgpr_dispatch_id 0
		.amdhsa_user_sgpr_flat_scratch_init 0
		.amdhsa_user_sgpr_private_segment_size 0
		.amdhsa_uses_dynamic_stack 0
		.amdhsa_system_sgpr_private_segment_wavefront_offset 0
		.amdhsa_system_sgpr_workgroup_id_x 1
		.amdhsa_system_sgpr_workgroup_id_y 0
		.amdhsa_system_sgpr_workgroup_id_z 0
		.amdhsa_system_sgpr_workgroup_info 0
		.amdhsa_system_vgpr_workitem_id 0
		.amdhsa_next_free_vgpr 193
		.amdhsa_next_free_sgpr 68
		.amdhsa_reserve_vcc 1
		.amdhsa_reserve_flat_scratch 0
		.amdhsa_float_round_mode_32 0
		.amdhsa_float_round_mode_16_64 0
		.amdhsa_float_denorm_mode_32 3
		.amdhsa_float_denorm_mode_16_64 3
		.amdhsa_dx10_clamp 1
		.amdhsa_ieee_mode 1
		.amdhsa_fp16_overflow 0
		.amdhsa_exception_fp_ieee_invalid_op 0
		.amdhsa_exception_fp_denorm_src 0
		.amdhsa_exception_fp_ieee_div_zero 0
		.amdhsa_exception_fp_ieee_overflow 0
		.amdhsa_exception_fp_ieee_underflow 0
		.amdhsa_exception_fp_ieee_inexact 0
		.amdhsa_exception_int_div_zero 0
	.end_amdhsa_kernel
	.text
.Lfunc_end0:
	.size	fft_rtc_fwd_len289_factors_17_17_wgs_119_tpt_17_dp_op_CI_CI_sbcc_twdbase8_2step, .Lfunc_end0-fft_rtc_fwd_len289_factors_17_17_wgs_119_tpt_17_dp_op_CI_CI_sbcc_twdbase8_2step
                                        ; -- End function
	.section	.AMDGPU.csdata,"",@progbits
; Kernel info:
; codeLenInByte = 19568
; NumSgprs: 72
; NumVgprs: 193
; ScratchSize: 0
; MemoryBound: 0
; FloatMode: 240
; IeeeMode: 1
; LDSByteSize: 0 bytes/workgroup (compile time only)
; SGPRBlocks: 8
; VGPRBlocks: 48
; NumSGPRsForWavesPerEU: 72
; NumVGPRsForWavesPerEU: 193
; Occupancy: 1
; WaveLimiterHint : 1
; COMPUTE_PGM_RSRC2:SCRATCH_EN: 0
; COMPUTE_PGM_RSRC2:USER_SGPR: 6
; COMPUTE_PGM_RSRC2:TRAP_HANDLER: 0
; COMPUTE_PGM_RSRC2:TGID_X_EN: 1
; COMPUTE_PGM_RSRC2:TGID_Y_EN: 0
; COMPUTE_PGM_RSRC2:TGID_Z_EN: 0
; COMPUTE_PGM_RSRC2:TIDIG_COMP_CNT: 0
	.type	__hip_cuid_a8282ffa37adb81c,@object ; @__hip_cuid_a8282ffa37adb81c
	.section	.bss,"aw",@nobits
	.globl	__hip_cuid_a8282ffa37adb81c
__hip_cuid_a8282ffa37adb81c:
	.byte	0                               ; 0x0
	.size	__hip_cuid_a8282ffa37adb81c, 1

	.ident	"AMD clang version 19.0.0git (https://github.com/RadeonOpenCompute/llvm-project roc-6.4.0 25133 c7fe45cf4b819c5991fe208aaa96edf142730f1d)"
	.section	".note.GNU-stack","",@progbits
	.addrsig
	.addrsig_sym __hip_cuid_a8282ffa37adb81c
	.amdgpu_metadata
---
amdhsa.kernels:
  - .args:
      - .actual_access:  read_only
        .address_space:  global
        .offset:         0
        .size:           8
        .value_kind:     global_buffer
      - .address_space:  global
        .offset:         8
        .size:           8
        .value_kind:     global_buffer
      - .offset:         16
        .size:           8
        .value_kind:     by_value
      - .actual_access:  read_only
        .address_space:  global
        .offset:         24
        .size:           8
        .value_kind:     global_buffer
      - .actual_access:  read_only
        .address_space:  global
        .offset:         32
        .size:           8
        .value_kind:     global_buffer
      - .actual_access:  read_only
        .address_space:  global
        .offset:         40
        .size:           8
        .value_kind:     global_buffer
      - .offset:         48
        .size:           8
        .value_kind:     by_value
      - .actual_access:  read_only
        .address_space:  global
        .offset:         56
        .size:           8
        .value_kind:     global_buffer
      - .actual_access:  read_only
        .address_space:  global
        .offset:         64
        .size:           8
        .value_kind:     global_buffer
      - .offset:         72
        .size:           4
        .value_kind:     by_value
      - .actual_access:  read_only
        .address_space:  global
        .offset:         80
        .size:           8
        .value_kind:     global_buffer
      - .actual_access:  read_only
        .address_space:  global
        .offset:         88
        .size:           8
        .value_kind:     global_buffer
      - .actual_access:  read_only
        .address_space:  global
        .offset:         96
        .size:           8
        .value_kind:     global_buffer
      - .actual_access:  write_only
        .address_space:  global
        .offset:         104
        .size:           8
        .value_kind:     global_buffer
    .group_segment_fixed_size: 0
    .kernarg_segment_align: 8
    .kernarg_segment_size: 112
    .language:       OpenCL C
    .language_version:
      - 2
      - 0
    .max_flat_workgroup_size: 119
    .name:           fft_rtc_fwd_len289_factors_17_17_wgs_119_tpt_17_dp_op_CI_CI_sbcc_twdbase8_2step
    .private_segment_fixed_size: 0
    .sgpr_count:     72
    .sgpr_spill_count: 0
    .symbol:         fft_rtc_fwd_len289_factors_17_17_wgs_119_tpt_17_dp_op_CI_CI_sbcc_twdbase8_2step.kd
    .uniform_work_group_size: 1
    .uses_dynamic_stack: false
    .vgpr_count:     193
    .vgpr_spill_count: 0
    .wavefront_size: 64
amdhsa.target:   amdgcn-amd-amdhsa--gfx906
amdhsa.version:
  - 1
  - 2
...

	.end_amdgpu_metadata
